;; amdgpu-corpus repo=ROCm/rocFFT kind=compiled arch=gfx1201 opt=O3
	.text
	.amdgcn_target "amdgcn-amd-amdhsa--gfx1201"
	.amdhsa_code_object_version 6
	.protected	fft_rtc_back_len1512_factors_2_2_2_3_3_3_7_wgs_63_tpt_63_halfLds_sp_op_CI_CI_unitstride_sbrr_dirReg ; -- Begin function fft_rtc_back_len1512_factors_2_2_2_3_3_3_7_wgs_63_tpt_63_halfLds_sp_op_CI_CI_unitstride_sbrr_dirReg
	.globl	fft_rtc_back_len1512_factors_2_2_2_3_3_3_7_wgs_63_tpt_63_halfLds_sp_op_CI_CI_unitstride_sbrr_dirReg
	.p2align	8
	.type	fft_rtc_back_len1512_factors_2_2_2_3_3_3_7_wgs_63_tpt_63_halfLds_sp_op_CI_CI_unitstride_sbrr_dirReg,@function
fft_rtc_back_len1512_factors_2_2_2_3_3_3_7_wgs_63_tpt_63_halfLds_sp_op_CI_CI_unitstride_sbrr_dirReg: ; @fft_rtc_back_len1512_factors_2_2_2_3_3_3_7_wgs_63_tpt_63_halfLds_sp_op_CI_CI_unitstride_sbrr_dirReg
; %bb.0:
	s_clause 0x2
	s_load_b128 s[4:7], s[0:1], 0x0
	s_load_b128 s[8:11], s[0:1], 0x58
	;; [unrolled: 1-line block ×3, first 2 shown]
	v_mul_u32_u24_e32 v1, 0x411, v0
	v_mov_b32_e32 v3, 0
	s_delay_alu instid0(VALU_DEP_2) | instskip(NEXT) | instid1(VALU_DEP_1)
	v_lshrrev_b32_e32 v1, 16, v1
	v_add_nc_u32_e32 v5, ttmp9, v1
	v_mov_b32_e32 v1, 0
	v_mov_b32_e32 v2, 0
	;; [unrolled: 1-line block ×3, first 2 shown]
	s_wait_kmcnt 0x0
	v_cmp_lt_u64_e64 s2, s[6:7], 2
	s_delay_alu instid0(VALU_DEP_1)
	s_and_b32 vcc_lo, exec_lo, s2
	s_cbranch_vccnz .LBB0_8
; %bb.1:
	s_load_b64 s[2:3], s[0:1], 0x10
	v_mov_b32_e32 v1, 0
	v_mov_b32_e32 v2, 0
	s_add_nc_u64 s[16:17], s[14:15], 8
	s_add_nc_u64 s[18:19], s[12:13], 8
	s_mov_b64 s[20:21], 1
	s_delay_alu instid0(VALU_DEP_1)
	v_dual_mov_b32 v33, v2 :: v_dual_mov_b32 v32, v1
	s_wait_kmcnt 0x0
	s_add_nc_u64 s[22:23], s[2:3], 8
	s_mov_b32 s3, 0
.LBB0_2:                                ; =>This Inner Loop Header: Depth=1
	s_load_b64 s[24:25], s[22:23], 0x0
                                        ; implicit-def: $vgpr34_vgpr35
	s_mov_b32 s2, exec_lo
	s_wait_kmcnt 0x0
	v_or_b32_e32 v4, s25, v6
	s_delay_alu instid0(VALU_DEP_1)
	v_cmpx_ne_u64_e32 0, v[3:4]
	s_wait_alu 0xfffe
	s_xor_b32 s26, exec_lo, s2
	s_cbranch_execz .LBB0_4
; %bb.3:                                ;   in Loop: Header=BB0_2 Depth=1
	s_cvt_f32_u32 s2, s24
	s_cvt_f32_u32 s27, s25
	s_sub_nc_u64 s[30:31], 0, s[24:25]
	s_wait_alu 0xfffe
	s_delay_alu instid0(SALU_CYCLE_1) | instskip(SKIP_1) | instid1(SALU_CYCLE_2)
	s_fmamk_f32 s2, s27, 0x4f800000, s2
	s_wait_alu 0xfffe
	v_s_rcp_f32 s2, s2
	s_delay_alu instid0(TRANS32_DEP_1) | instskip(SKIP_1) | instid1(SALU_CYCLE_2)
	s_mul_f32 s2, s2, 0x5f7ffffc
	s_wait_alu 0xfffe
	s_mul_f32 s27, s2, 0x2f800000
	s_wait_alu 0xfffe
	s_delay_alu instid0(SALU_CYCLE_2) | instskip(SKIP_1) | instid1(SALU_CYCLE_2)
	s_trunc_f32 s27, s27
	s_wait_alu 0xfffe
	s_fmamk_f32 s2, s27, 0xcf800000, s2
	s_cvt_u32_f32 s29, s27
	s_wait_alu 0xfffe
	s_delay_alu instid0(SALU_CYCLE_1) | instskip(SKIP_1) | instid1(SALU_CYCLE_2)
	s_cvt_u32_f32 s28, s2
	s_wait_alu 0xfffe
	s_mul_u64 s[34:35], s[30:31], s[28:29]
	s_wait_alu 0xfffe
	s_mul_hi_u32 s37, s28, s35
	s_mul_i32 s36, s28, s35
	s_mul_hi_u32 s2, s28, s34
	s_mul_i32 s33, s29, s34
	s_wait_alu 0xfffe
	s_add_nc_u64 s[36:37], s[2:3], s[36:37]
	s_mul_hi_u32 s27, s29, s34
	s_mul_hi_u32 s38, s29, s35
	s_add_co_u32 s2, s36, s33
	s_wait_alu 0xfffe
	s_add_co_ci_u32 s2, s37, s27
	s_mul_i32 s34, s29, s35
	s_add_co_ci_u32 s35, s38, 0
	s_wait_alu 0xfffe
	s_add_nc_u64 s[34:35], s[2:3], s[34:35]
	s_wait_alu 0xfffe
	v_add_co_u32 v4, s2, s28, s34
	s_delay_alu instid0(VALU_DEP_1) | instskip(SKIP_1) | instid1(VALU_DEP_1)
	s_cmp_lg_u32 s2, 0
	s_add_co_ci_u32 s29, s29, s35
	v_readfirstlane_b32 s28, v4
	s_wait_alu 0xfffe
	s_delay_alu instid0(VALU_DEP_1)
	s_mul_u64 s[30:31], s[30:31], s[28:29]
	s_wait_alu 0xfffe
	s_mul_hi_u32 s35, s28, s31
	s_mul_i32 s34, s28, s31
	s_mul_hi_u32 s2, s28, s30
	s_mul_i32 s33, s29, s30
	s_wait_alu 0xfffe
	s_add_nc_u64 s[34:35], s[2:3], s[34:35]
	s_mul_hi_u32 s27, s29, s30
	s_mul_hi_u32 s28, s29, s31
	s_wait_alu 0xfffe
	s_add_co_u32 s2, s34, s33
	s_add_co_ci_u32 s2, s35, s27
	s_mul_i32 s30, s29, s31
	s_add_co_ci_u32 s31, s28, 0
	s_wait_alu 0xfffe
	s_add_nc_u64 s[30:31], s[2:3], s[30:31]
	s_wait_alu 0xfffe
	v_add_co_u32 v4, s2, v4, s30
	s_delay_alu instid0(VALU_DEP_1) | instskip(SKIP_1) | instid1(VALU_DEP_1)
	s_cmp_lg_u32 s2, 0
	s_add_co_ci_u32 s2, s29, s31
	v_mul_hi_u32 v13, v5, v4
	s_wait_alu 0xfffe
	v_mad_co_u64_u32 v[7:8], null, v5, s2, 0
	v_mad_co_u64_u32 v[9:10], null, v6, v4, 0
	;; [unrolled: 1-line block ×3, first 2 shown]
	s_delay_alu instid0(VALU_DEP_3) | instskip(SKIP_1) | instid1(VALU_DEP_4)
	v_add_co_u32 v4, vcc_lo, v13, v7
	s_wait_alu 0xfffd
	v_add_co_ci_u32_e32 v7, vcc_lo, 0, v8, vcc_lo
	s_delay_alu instid0(VALU_DEP_2) | instskip(SKIP_1) | instid1(VALU_DEP_2)
	v_add_co_u32 v4, vcc_lo, v4, v9
	s_wait_alu 0xfffd
	v_add_co_ci_u32_e32 v4, vcc_lo, v7, v10, vcc_lo
	s_wait_alu 0xfffd
	v_add_co_ci_u32_e32 v7, vcc_lo, 0, v12, vcc_lo
	s_delay_alu instid0(VALU_DEP_2) | instskip(SKIP_1) | instid1(VALU_DEP_2)
	v_add_co_u32 v4, vcc_lo, v4, v11
	s_wait_alu 0xfffd
	v_add_co_ci_u32_e32 v9, vcc_lo, 0, v7, vcc_lo
	s_delay_alu instid0(VALU_DEP_2) | instskip(SKIP_1) | instid1(VALU_DEP_3)
	v_mul_lo_u32 v10, s25, v4
	v_mad_co_u64_u32 v[7:8], null, s24, v4, 0
	v_mul_lo_u32 v11, s24, v9
	s_delay_alu instid0(VALU_DEP_2) | instskip(NEXT) | instid1(VALU_DEP_2)
	v_sub_co_u32 v7, vcc_lo, v5, v7
	v_add3_u32 v8, v8, v11, v10
	s_delay_alu instid0(VALU_DEP_1) | instskip(SKIP_1) | instid1(VALU_DEP_1)
	v_sub_nc_u32_e32 v10, v6, v8
	s_wait_alu 0xfffd
	v_subrev_co_ci_u32_e64 v10, s2, s25, v10, vcc_lo
	v_add_co_u32 v11, s2, v4, 2
	s_wait_alu 0xf1ff
	v_add_co_ci_u32_e64 v12, s2, 0, v9, s2
	v_sub_co_u32 v13, s2, v7, s24
	v_sub_co_ci_u32_e32 v8, vcc_lo, v6, v8, vcc_lo
	s_wait_alu 0xf1ff
	v_subrev_co_ci_u32_e64 v10, s2, 0, v10, s2
	s_delay_alu instid0(VALU_DEP_3) | instskip(NEXT) | instid1(VALU_DEP_3)
	v_cmp_le_u32_e32 vcc_lo, s24, v13
	v_cmp_eq_u32_e64 s2, s25, v8
	s_wait_alu 0xfffd
	v_cndmask_b32_e64 v13, 0, -1, vcc_lo
	v_cmp_le_u32_e32 vcc_lo, s25, v10
	s_wait_alu 0xfffd
	v_cndmask_b32_e64 v14, 0, -1, vcc_lo
	v_cmp_le_u32_e32 vcc_lo, s24, v7
	;; [unrolled: 3-line block ×3, first 2 shown]
	s_wait_alu 0xfffd
	v_cndmask_b32_e64 v15, 0, -1, vcc_lo
	v_cmp_eq_u32_e32 vcc_lo, s25, v10
	s_wait_alu 0xf1ff
	s_delay_alu instid0(VALU_DEP_2)
	v_cndmask_b32_e64 v7, v15, v7, s2
	s_wait_alu 0xfffd
	v_cndmask_b32_e32 v10, v14, v13, vcc_lo
	v_add_co_u32 v13, vcc_lo, v4, 1
	s_wait_alu 0xfffd
	v_add_co_ci_u32_e32 v14, vcc_lo, 0, v9, vcc_lo
	s_delay_alu instid0(VALU_DEP_3) | instskip(SKIP_1) | instid1(VALU_DEP_2)
	v_cmp_ne_u32_e32 vcc_lo, 0, v10
	s_wait_alu 0xfffd
	v_cndmask_b32_e32 v8, v14, v12, vcc_lo
	v_cndmask_b32_e32 v10, v13, v11, vcc_lo
	v_cmp_ne_u32_e32 vcc_lo, 0, v7
	s_wait_alu 0xfffd
	s_delay_alu instid0(VALU_DEP_2)
	v_dual_cndmask_b32 v35, v9, v8 :: v_dual_cndmask_b32 v34, v4, v10
.LBB0_4:                                ;   in Loop: Header=BB0_2 Depth=1
	s_wait_alu 0xfffe
	s_and_not1_saveexec_b32 s2, s26
	s_cbranch_execz .LBB0_6
; %bb.5:                                ;   in Loop: Header=BB0_2 Depth=1
	v_cvt_f32_u32_e32 v4, s24
	s_sub_co_i32 s26, 0, s24
	v_mov_b32_e32 v35, v3
	s_delay_alu instid0(VALU_DEP_2) | instskip(NEXT) | instid1(TRANS32_DEP_1)
	v_rcp_iflag_f32_e32 v4, v4
	v_mul_f32_e32 v4, 0x4f7ffffe, v4
	s_delay_alu instid0(VALU_DEP_1) | instskip(SKIP_1) | instid1(VALU_DEP_1)
	v_cvt_u32_f32_e32 v4, v4
	s_wait_alu 0xfffe
	v_mul_lo_u32 v7, s26, v4
	s_delay_alu instid0(VALU_DEP_1) | instskip(NEXT) | instid1(VALU_DEP_1)
	v_mul_hi_u32 v7, v4, v7
	v_add_nc_u32_e32 v4, v4, v7
	s_delay_alu instid0(VALU_DEP_1) | instskip(NEXT) | instid1(VALU_DEP_1)
	v_mul_hi_u32 v4, v5, v4
	v_mul_lo_u32 v7, v4, s24
	v_add_nc_u32_e32 v8, 1, v4
	s_delay_alu instid0(VALU_DEP_2) | instskip(NEXT) | instid1(VALU_DEP_1)
	v_sub_nc_u32_e32 v7, v5, v7
	v_subrev_nc_u32_e32 v9, s24, v7
	v_cmp_le_u32_e32 vcc_lo, s24, v7
	s_wait_alu 0xfffd
	s_delay_alu instid0(VALU_DEP_2) | instskip(NEXT) | instid1(VALU_DEP_1)
	v_dual_cndmask_b32 v7, v7, v9 :: v_dual_cndmask_b32 v4, v4, v8
	v_cmp_le_u32_e32 vcc_lo, s24, v7
	s_delay_alu instid0(VALU_DEP_2) | instskip(SKIP_1) | instid1(VALU_DEP_1)
	v_add_nc_u32_e32 v8, 1, v4
	s_wait_alu 0xfffd
	v_cndmask_b32_e32 v34, v4, v8, vcc_lo
.LBB0_6:                                ;   in Loop: Header=BB0_2 Depth=1
	s_wait_alu 0xfffe
	s_or_b32 exec_lo, exec_lo, s2
	v_mul_lo_u32 v4, v35, s24
	s_delay_alu instid0(VALU_DEP_2)
	v_mul_lo_u32 v9, v34, s25
	s_load_b64 s[26:27], s[18:19], 0x0
	v_mad_co_u64_u32 v[7:8], null, v34, s24, 0
	s_load_b64 s[24:25], s[16:17], 0x0
	s_add_nc_u64 s[20:21], s[20:21], 1
	s_add_nc_u64 s[16:17], s[16:17], 8
	s_wait_alu 0xfffe
	v_cmp_ge_u64_e64 s2, s[20:21], s[6:7]
	s_add_nc_u64 s[18:19], s[18:19], 8
	s_add_nc_u64 s[22:23], s[22:23], 8
	v_add3_u32 v4, v8, v9, v4
	v_sub_co_u32 v5, vcc_lo, v5, v7
	s_wait_alu 0xfffd
	s_delay_alu instid0(VALU_DEP_2) | instskip(SKIP_2) | instid1(VALU_DEP_1)
	v_sub_co_ci_u32_e32 v4, vcc_lo, v6, v4, vcc_lo
	s_and_b32 vcc_lo, exec_lo, s2
	s_wait_kmcnt 0x0
	v_mul_lo_u32 v6, s26, v4
	v_mul_lo_u32 v7, s27, v5
	v_mad_co_u64_u32 v[1:2], null, s26, v5, v[1:2]
	v_mul_lo_u32 v4, s24, v4
	v_mul_lo_u32 v8, s25, v5
	v_mad_co_u64_u32 v[32:33], null, s24, v5, v[32:33]
	s_delay_alu instid0(VALU_DEP_4) | instskip(NEXT) | instid1(VALU_DEP_2)
	v_add3_u32 v2, v7, v2, v6
	v_add3_u32 v33, v8, v33, v4
	s_wait_alu 0xfffe
	s_cbranch_vccnz .LBB0_9
; %bb.7:                                ;   in Loop: Header=BB0_2 Depth=1
	v_dual_mov_b32 v5, v34 :: v_dual_mov_b32 v6, v35
	s_branch .LBB0_2
.LBB0_8:
	v_dual_mov_b32 v33, v2 :: v_dual_mov_b32 v32, v1
	v_dual_mov_b32 v35, v6 :: v_dual_mov_b32 v34, v5
.LBB0_9:
	s_load_b64 s[0:1], s[0:1], 0x28
	v_mul_hi_u32 v27, 0x4104105, v0
	s_lshl_b64 s[6:7], s[6:7], 3
                                        ; implicit-def: $sgpr2_sgpr3
                                        ; implicit-def: $vgpr64
	s_wait_kmcnt 0x0
	v_cmp_gt_u64_e32 vcc_lo, s[0:1], v[34:35]
	v_cmp_le_u64_e64 s0, s[0:1], v[34:35]
	s_delay_alu instid0(VALU_DEP_1)
	s_and_saveexec_b32 s1, s0
	s_wait_alu 0xfffe
	s_xor_b32 s0, exec_lo, s1
; %bb.10:
	v_mul_u32_u24_e32 v1, 63, v27
	s_mov_b64 s[2:3], 0
                                        ; implicit-def: $vgpr27
	s_delay_alu instid0(VALU_DEP_1)
	v_sub_nc_u32_e32 v64, v0, v1
                                        ; implicit-def: $vgpr0
                                        ; implicit-def: $vgpr1_vgpr2
; %bb.11:
	s_wait_alu 0xfffe
	s_or_saveexec_b32 s1, s0
	v_dual_mov_b32 v4, s3 :: v_dual_mov_b32 v3, s2
	v_dual_mov_b32 v8, s3 :: v_dual_mov_b32 v7, s2
	;; [unrolled: 1-line block ×12, first 2 shown]
	s_add_nc_u64 s[2:3], s[14:15], s[6:7]
                                        ; implicit-def: $vgpr49
                                        ; implicit-def: $vgpr37
                                        ; implicit-def: $vgpr47
                                        ; implicit-def: $vgpr45
                                        ; implicit-def: $vgpr30
                                        ; implicit-def: $vgpr39
                                        ; implicit-def: $vgpr28
                                        ; implicit-def: $vgpr43
                                        ; implicit-def: $vgpr53
                                        ; implicit-def: $vgpr41
                                        ; implicit-def: $vgpr51
                                        ; implicit-def: $vgpr55
	s_wait_alu 0xfffe
	s_xor_b32 exec_lo, exec_lo, s1
	s_cbranch_execz .LBB0_13
; %bb.12:
	s_add_nc_u64 s[6:7], s[12:13], s[6:7]
	v_lshlrev_b64_e32 v[1:2], 3, v[1:2]
	s_load_b64 s[6:7], s[6:7], 0x0
	s_wait_kmcnt 0x0
	v_mul_lo_u32 v5, s7, v34
	v_mul_lo_u32 v6, s6, v35
	v_mad_co_u64_u32 v[3:4], null, s6, v34, 0
	s_delay_alu instid0(VALU_DEP_1) | instskip(SKIP_1) | instid1(VALU_DEP_2)
	v_add3_u32 v4, v4, v6, v5
	v_mul_u32_u24_e32 v5, 63, v27
	v_lshlrev_b64_e32 v[3:4], 3, v[3:4]
	s_delay_alu instid0(VALU_DEP_2) | instskip(NEXT) | instid1(VALU_DEP_2)
	v_sub_nc_u32_e32 v64, v0, v5
	v_add_co_u32 v0, s0, s8, v3
	s_wait_alu 0xf1ff
	s_delay_alu instid0(VALU_DEP_3) | instskip(NEXT) | instid1(VALU_DEP_3)
	v_add_co_ci_u32_e64 v3, s0, s9, v4, s0
	v_lshlrev_b32_e32 v4, 3, v64
	s_delay_alu instid0(VALU_DEP_3) | instskip(SKIP_1) | instid1(VALU_DEP_3)
	v_add_co_u32 v0, s0, v0, v1
	s_wait_alu 0xf1ff
	v_add_co_ci_u32_e64 v1, s0, v3, v2, s0
	s_delay_alu instid0(VALU_DEP_2) | instskip(SKIP_1) | instid1(VALU_DEP_2)
	v_add_co_u32 v0, s0, v0, v4
	s_wait_alu 0xf1ff
	v_add_co_ci_u32_e64 v1, s0, 0, v1, s0
	s_clause 0x17
	global_load_b64 v[3:4], v[0:1], off
	global_load_b64 v[7:8], v[0:1], off offset:504
	global_load_b64 v[15:16], v[0:1], off offset:1008
	;; [unrolled: 1-line block ×23, first 2 shown]
.LBB0_13:
	s_or_b32 exec_lo, exec_lo, s1
	s_wait_loadcnt 0x12
	v_dual_sub_f32 v1, v3, v48 :: v_dual_sub_f32 v58, v8, v55
	v_dual_sub_f32 v49, v4, v49 :: v_dual_sub_f32 v56, v7, v54
	s_wait_loadcnt 0x10
	v_sub_f32_e32 v37, v20, v37
	s_delay_alu instid0(VALU_DEP_3)
	v_fma_f32 v0, v3, 2.0, -v1
	v_dual_sub_f32 v3, v15, v50 :: v_dual_sub_f32 v60, v16, v51
	v_fma_f32 v57, v8, 2.0, -v58
	s_wait_loadcnt 0xa
	v_dual_sub_f32 v8, v11, v46 :: v_dual_sub_f32 v83, v22, v45
	v_fma_f32 v55, v7, 2.0, -v56
	v_fma_f32 v59, v16, 2.0, -v60
	v_sub_f32_e32 v16, v21, v44
	s_delay_alu instid0(VALU_DEP_4)
	v_fma_f32 v7, v11, 2.0, -v8
	s_wait_loadcnt 0x8
	v_dual_sub_f32 v11, v17, v29 :: v_dual_sub_f32 v54, v18, v30
	v_fma_f32 v82, v22, 2.0, -v83
	s_wait_loadcnt 0x3
	v_dual_sub_f32 v22, v25, v52 :: v_dual_sub_f32 v85, v26, v53
	s_wait_loadcnt 0x1
	v_dual_sub_f32 v44, v24, v39 :: v_dual_add_nc_u32 v79, 0x1b9, v64
	v_add_nc_u32_e32 v62, 63, v64
	v_add_nc_u32_e32 v66, 0x7e, v64
	v_dual_sub_f32 v51, v19, v36 :: v_dual_sub_f32 v46, v12, v47
	v_fma_f32 v53, v18, 2.0, -v54
	v_dual_sub_f32 v18, v13, v42 :: v_dual_add_nc_u32 v65, 0xbd, v64
	v_fma_f32 v84, v26, 2.0, -v85
	v_dual_sub_f32 v26, v14, v43 :: v_dual_add_nc_u32 v81, 0xfc, v64
	v_fma_f32 v43, v24, 2.0, -v44
	v_lshl_add_u32 v24, v64, 3, 0
	v_lshl_add_u32 v29, v62, 3, 0
	v_fma_f32 v2, v15, 2.0, -v3
	v_fma_f32 v36, v20, 2.0, -v37
	v_dual_sub_f32 v20, v9, v40 :: v_dual_sub_f32 v31, v10, v41
	v_sub_f32_e32 v40, v23, v38
	v_lshl_add_u32 v38, v66, 3, 0
	v_fma_f32 v50, v19, 2.0, -v51
	v_lshl_add_u32 v47, v65, 3, 0
	s_load_b64 s[2:3], s[2:3], 0x0
	ds_store_b64 v24, v[0:1]
	ds_store_b64 v29, v[55:56]
	;; [unrolled: 1-line block ×4, first 2 shown]
	v_add_nc_u32_e32 v51, 0x1f8, v64
	v_add_nc_u32_e32 v80, 0x13b, v64
	;; [unrolled: 1-line block ×3, first 2 shown]
	v_lshl_add_u32 v67, v64, 2, 0
	v_add_nc_u32_e32 v78, 0x17a, v64
	v_add_nc_u32_e32 v41, 0x276, v64
	v_fma_f32 v30, v10, 2.0, -v31
	v_fma_f32 v10, v17, 2.0, -v11
	;; [unrolled: 1-line block ×3, first 2 shown]
	s_wait_loadcnt 0x0
	v_dual_sub_f32 v13, v5, v27 :: v_dual_add_nc_u32 v42, 0x2b5, v64
	v_fma_f32 v15, v21, 2.0, -v16
	v_fma_f32 v21, v25, 2.0, -v22
	v_dual_sub_f32 v28, v6, v28 :: v_dual_add_nc_u32 v69, 0xc00, v67
	v_lshl_add_u32 v50, v81, 3, 0
	v_lshl_add_u32 v63, v51, 3, 0
	;; [unrolled: 1-line block ×4, first 2 shown]
	v_add_nc_u32_e32 v68, 0xa00, v67
	v_fma_f32 v19, v9, 2.0, -v20
	v_fma_f32 v39, v23, 2.0, -v40
	v_lshl_add_u32 v55, v78, 3, 0
	v_lshl_add_u32 v87, v41, 3, 0
	v_add_nc_u32_e32 v76, 0x200, v67
	v_fma_f32 v45, v12, 2.0, -v46
	v_fma_f32 v12, v5, 2.0, -v13
	v_lshl_add_u32 v61, v79, 3, 0
	v_lshl_add_u32 v88, v42, 3, 0
	v_add_nc_u32_e32 v71, 0xe00, v67
	v_fma_f32 v48, v4, 2.0, -v49
	v_add_nc_u32_e32 v70, 0x400, v67
	v_add_nc_u32_e32 v72, 0x1000, v67
	v_fma_f32 v27, v6, 2.0, -v28
	ds_store_b64 v50, v[7:8]
	ds_store_b64 v52, v[15:16]
	ds_store_b64 v55, v[19:20]
	ds_store_b64 v61, v[10:11]
	ds_store_b64 v63, v[21:22]
	ds_store_b64 v86, v[17:18]
	ds_store_b64 v87, v[39:40]
	ds_store_b64 v88, v[12:13]
	global_wb scope:SCOPE_SE
	s_wait_dscnt 0x0
	s_wait_kmcnt 0x0
	s_barrier_signal -1
	s_barrier_wait -1
	global_inv scope:SCOPE_SE
	ds_load_2addr_b32 v[0:1], v67 offset1:63
	ds_load_2addr_b32 v[12:13], v68 offset0:116 offset1:179
	ds_load_2addr_b32 v[2:3], v67 offset0:126 offset1:189
	;; [unrolled: 1-line block ×6, first 2 shown]
	v_add_nc_u32_e32 v77, 0x600, v67
	v_add_nc_u32_e32 v75, 0x1200, v67
	v_add_nc_u32_e32 v74, 0x800, v67
	v_add_nc_u32_e32 v73, 0x1400, v67
	v_fma_f32 v25, v14, 2.0, -v26
	ds_load_2addr_b32 v[18:19], v72 offset0:110 offset1:173
	ds_load_2addr_b32 v[8:9], v77 offset0:120 offset1:183
	;; [unrolled: 1-line block ×5, first 2 shown]
	global_wb scope:SCOPE_SE
	s_wait_dscnt 0x0
	s_barrier_signal -1
	s_barrier_wait -1
	global_inv scope:SCOPE_SE
	ds_store_b64 v24, v[48:49]
	ds_store_b64 v29, v[57:58]
	;; [unrolled: 1-line block ×8, first 2 shown]
	v_and_b32_e32 v59, 1, v64
	v_and_b32_e32 v60, 1, v65
	ds_store_b64 v63, v[84:85]
	ds_store_b64 v86, v[25:26]
	ds_store_b64 v87, v[43:44]
	ds_store_b64 v88, v[27:28]
	global_wb scope:SCOPE_SE
	s_wait_dscnt 0x0
	s_barrier_signal -1
	v_lshlrev_b32_e32 v24, 3, v59
	v_lshlrev_b32_e32 v26, 3, v60
	s_barrier_wait -1
	global_inv scope:SCOPE_SE
	s_clause 0x1
	global_load_b64 v[24:25], v24, s[4:5]
	global_load_b64 v[39:40], v26, s[4:5]
	v_and_b32_e32 v82, 1, v80
	v_and_b32_e32 v83, 1, v79
	;; [unrolled: 1-line block ×4, first 2 shown]
	v_cmp_gt_u32_e64 s0, 9, v64
	v_lshlrev_b32_e32 v26, 3, v82
	s_delay_alu instid0(VALU_DEP_3)
	v_lshlrev_b32_e32 v30, 3, v85
	global_load_b64 v[28:29], v26, s[4:5]
	v_lshlrev_b32_e32 v26, 3, v83
	global_load_b64 v[37:38], v26, s[4:5]
	v_lshlrev_b32_e32 v26, 3, v84
	s_clause 0x2
	global_load_b64 v[26:27], v26, s[4:5]
	global_load_b32 v63, v30, s[4:5] offset:4
	global_load_b64 v[30:31], v30, s[4:5]
	ds_load_2addr_b32 v[87:88], v69 offset0:114 offset1:177
	v_lshlrev_b32_e32 v47, 1, v81
	s_wait_loadcnt_dscnt 0x600
	v_dual_mul_f32 v115, v87, v25 :: v_dual_and_b32 v86, 1, v62
	v_mul_f32_e32 v118, v22, v25
	s_wait_loadcnt 0x5
	v_dual_mul_f32 v116, v88, v40 :: v_dual_lshlrev_b32 v51, 1, v51
	s_delay_alu instid0(VALU_DEP_3)
	v_fmac_f32_e32 v115, v22, v24
	v_mul_f32_e32 v22, v23, v40
	v_fma_f32 v87, v87, v24, -v118
	v_lshlrev_b32_e32 v36, 3, v86
	v_mul_f32_e32 v118, v20, v25
	v_fmac_f32_e32 v116, v23, v39
	v_and_or_b32 v23, 0x7fc, v51, v59
	v_fma_f32 v22, v88, v39, -v22
	global_load_b32 v61, v36, s[4:5]
	ds_load_2addr_b32 v[89:90], v71 offset0:112 offset1:175
	ds_load_2addr_b32 v[91:92], v72 offset0:110 offset1:173
	;; [unrolled: 1-line block ×5, first 2 shown]
	ds_load_2addr_b32 v[99:100], v67 offset1:63
	ds_load_2addr_b32 v[101:102], v67 offset0:126 offset1:189
	ds_load_2addr_b32 v[103:104], v76 offset0:124 offset1:187
	;; [unrolled: 1-line block ×5, first 2 shown]
	v_lshlrev_b32_e32 v54, 1, v42
	v_lshl_add_u32 v119, v23, 2, 0
	v_and_b32_e32 v43, 3, v64
	v_lshlrev_b32_e32 v46, 1, v65
	global_wb scope:SCOPE_SE
	s_wait_loadcnt_dscnt 0x0
	s_barrier_signal -1
	s_barrier_wait -1
	global_inv scope:SCOPE_SE
	v_mul_f32_e32 v39, v89, v25
	v_mul_f32_e32 v23, v92, v38
	s_delay_alu instid0(VALU_DEP_2) | instskip(NEXT) | instid1(VALU_DEP_2)
	v_dual_mul_f32 v38, v19, v38 :: v_dual_fmac_f32 v39, v20, v24
	v_dual_fmac_f32 v23, v19, v37 :: v_dual_lshlrev_b32 v52, 1, v56
	s_delay_alu instid0(VALU_DEP_2) | instskip(SKIP_1) | instid1(VALU_DEP_3)
	v_fma_f32 v37, v92, v37, -v38
	v_mul_f32_e32 v38, v95, v25
	v_dual_mul_f32 v20, v21, v29 :: v_dual_sub_f32 v23, v7, v23
	s_delay_alu instid0(VALU_DEP_4) | instskip(SKIP_2) | instid1(VALU_DEP_4)
	v_and_or_b32 v40, 0x4fc, v52, v84
	v_and_or_b32 v84, 0x5fc, v54, v85
	v_mul_f32_e32 v85, v90, v29
	v_fma_f32 v20, v90, v28, -v20
	v_dual_mul_f32 v90, v94, v27 :: v_dual_mul_f32 v19, v16, v25
	v_dual_fmac_f32 v38, v14, v24 :: v_dual_lshlrev_b32 v53, 1, v41
	s_delay_alu instid0(VALU_DEP_4) | instskip(SKIP_4) | instid1(VALU_DEP_4)
	v_fmac_f32_e32 v85, v21, v28
	v_mul_f32_e32 v21, v91, v25
	v_fma_f32 v28, v89, v24, -v118
	v_mul_f32_e32 v89, v18, v25
	v_and_b32_e32 v55, 3, v78
	v_dual_fmac_f32 v21, v18, v24 :: v_dual_and_b32 v58, 3, v79
	v_mul_f32_e32 v18, v93, v25
	s_delay_alu instid0(VALU_DEP_4)
	v_fma_f32 v89, v91, v24, -v89
	v_mul_f32_e32 v91, v97, v25
	v_lshlrev_b32_e32 v45, 1, v66
	v_fmac_f32_e32 v90, v17, v26
	v_fmac_f32_e32 v18, v16, v24
	v_dual_mul_f32 v16, v17, v27 :: v_dual_mul_f32 v17, v14, v25
	v_dual_mul_f32 v25, v12, v25 :: v_dual_mul_f32 v14, v98, v31
	v_fmac_f32_e32 v91, v12, v24
	v_lshlrev_b32_e32 v49, 1, v78
	v_fma_f32 v19, v93, v24, -v19
	v_lshlrev_b32_e32 v36, 1, v64
	v_fma_f32 v16, v94, v26, -v16
	v_mul_f32_e32 v26, v96, v63
	v_mul_f32_e32 v27, v15, v63
	;; [unrolled: 1-line block ×3, first 2 shown]
	v_fma_f32 v17, v95, v24, -v17
	v_lshlrev_b32_e32 v44, 1, v62
	v_fma_f32 v12, v97, v24, -v25
	v_sub_f32_e32 v24, v0, v91
	v_sub_f32_e32 v91, v104, v20
	v_lshlrev_b32_e32 v29, 3, v58
	v_dual_fmac_f32 v26, v15, v30 :: v_dual_and_b32 v57, 3, v80
	v_fma_f32 v15, v96, v30, -v27
	v_sub_f32_e32 v27, v4, v39
	v_sub_f32_e32 v39, v107, v19
	v_and_or_b32 v111, 0x7c, v36, v59
	v_dual_sub_f32 v19, v5, v85 :: v_dual_lshlrev_b32 v48, 1, v80
	v_dual_sub_f32 v63, v9, v90 :: v_dual_lshlrev_b32 v50, 1, v79
	v_sub_f32_e32 v21, v6, v21
	v_and_or_b32 v113, 0x1fc, v45, v59
	v_dual_sub_f32 v25, v99, v12 :: v_dual_sub_f32 v12, v2, v115
	v_lshl_add_u32 v111, v111, 2, 0
	v_fma_f32 v0, v0, 2.0, -v24
	v_and_or_b32 v114, 0x3fc, v47, v59
	v_and_or_b32 v82, 0x2fc, v48, v82
	;; [unrolled: 1-line block ×5, first 2 shown]
	v_dual_sub_f32 v18, v8, v18 :: v_dual_sub_f32 v95, v110, v15
	v_sub_f32_e32 v30, v10, v38
	v_sub_f32_e32 v26, v11, v26
	v_lshl_add_u32 v113, v113, 2, 0
	v_fma_f32 v2, v2, 2.0, -v12
	ds_store_2addr_b32 v111, v0, v24 offset1:2
	v_lshl_add_u32 v114, v114, 2, 0
	v_fma_f32 v4, v4, 2.0, -v27
	v_lshl_add_u32 v82, v82, 2, 0
	v_lshl_add_u32 v117, v117, 2, 0
	;; [unrolled: 1-line block ×6, first 2 shown]
	v_fma_f32 v6, v6, 2.0, -v21
	v_fma_f32 v8, v8, 2.0, -v18
	;; [unrolled: 1-line block ×3, first 2 shown]
	v_sub_f32_e32 v28, v103, v28
	v_dual_sub_f32 v37, v106, v37 :: v_dual_lshlrev_b32 v112, 3, v43
	v_dual_sub_f32 v93, v108, v16 :: v_dual_lshlrev_b32 v88, 3, v55
	v_sub_f32_e32 v38, v105, v89
	v_fma_f32 v85, v99, 2.0, -v25
	v_fma_f32 v92, v103, 2.0, -v28
	;; [unrolled: 1-line block ×5, first 2 shown]
	v_and_or_b32 v47, 0x3f8, v47, v43
	v_and_or_b32 v51, 0x7f8, v51, v43
	;; [unrolled: 1-line block ×5, first 2 shown]
	s_delay_alu instid0(VALU_DEP_4) | instskip(NEXT) | instid1(VALU_DEP_3)
	v_lshl_add_u32 v105, v51, 2, 0
	v_lshl_add_u32 v103, v49, 2, 0
	s_delay_alu instid0(VALU_DEP_3) | instskip(SKIP_4) | instid1(VALU_DEP_4)
	v_lshl_add_u32 v104, v50, 2, 0
	v_fmac_f32_e32 v14, v13, v61
	v_fma_f32 v13, v98, v61, -v31
	v_sub_f32_e32 v61, v109, v17
	v_and_or_b32 v86, 0xfc, v44, v86
	v_dual_sub_f32 v17, v3, v116 :: v_dual_sub_f32 v14, v1, v14
	v_and_or_b32 v60, 0x1fc, v46, v60
	v_sub_f32_e32 v31, v101, v87
	s_delay_alu instid0(VALU_DEP_4) | instskip(NEXT) | instid1(VALU_DEP_4)
	v_lshl_add_u32 v86, v86, 2, 0
	v_fma_f32 v0, v3, 2.0, -v17
	v_fma_f32 v1, v1, 2.0, -v14
	v_lshl_add_u32 v60, v60, 2, 0
	v_sub_f32_e32 v87, v100, v13
	v_fma_f32 v3, v5, 2.0, -v19
	v_fma_f32 v5, v7, 2.0, -v23
	;; [unrolled: 1-line block ×4, first 2 shown]
	ds_store_2addr_b32 v86, v1, v14 offset1:2
	ds_store_2addr_b32 v113, v2, v12 offset1:2
	;; [unrolled: 1-line block ×11, first 2 shown]
	v_and_b32_e32 v63, 7, v62
	v_sub_f32_e32 v90, v102, v22
	v_fma_f32 v24, v100, 2.0, -v87
	v_fma_f32 v89, v101, 2.0, -v31
	;; [unrolled: 1-line block ×7, first 2 shown]
	global_wb scope:SCOPE_SE
	s_wait_dscnt 0x0
	s_barrier_signal -1
	s_barrier_wait -1
	global_inv scope:SCOPE_SE
	ds_load_2addr_b32 v[10:11], v67 offset1:63
	ds_load_2addr_b32 v[14:15], v68 offset0:116 offset1:179
	ds_load_2addr_b32 v[8:9], v67 offset0:126 offset1:189
	;; [unrolled: 1-line block ×11, first 2 shown]
	global_wb scope:SCOPE_SE
	s_wait_dscnt 0x0
	s_barrier_signal -1
	s_barrier_wait -1
	global_inv scope:SCOPE_SE
	ds_store_2addr_b32 v111, v85, v25 offset1:2
	ds_store_2addr_b32 v86, v24, v87 offset1:2
	;; [unrolled: 1-line block ×12, first 2 shown]
	global_wb scope:SCOPE_SE
	s_wait_dscnt 0x0
	s_barrier_signal -1
	s_barrier_wait -1
	global_inv scope:SCOPE_SE
	s_clause 0x2
	global_load_b64 v[39:40], v88, s[4:5] offset:16
	global_load_b64 v[28:29], v29, s[4:5] offset:16
	;; [unrolled: 1-line block ×3, first 2 shown]
	v_lshlrev_b32_e32 v26, 3, v57
	v_and_b32_e32 v86, 3, v56
	v_and_b32_e32 v87, 3, v41
	;; [unrolled: 1-line block ×4, first 2 shown]
	global_load_b64 v[26:27], v26, s[4:5] offset:16
	v_lshlrev_b32_e32 v30, 3, v86
	v_lshlrev_b32_e32 v56, 3, v87
	v_and_or_b32 v44, 0xf8, v44, v89
	v_lshlrev_b32_e32 v61, 3, v91
	v_and_or_b32 v46, 0x1f8, v46, v91
	global_load_b32 v83, v30, s[4:5] offset:20
	v_and_b32_e32 v88, 3, v42
	v_and_b32_e32 v90, 3, v66
	v_and_or_b32 v92, 0x78, v36, v43
	v_lshl_add_u32 v98, v44, 2, 0
	v_lshl_add_u32 v100, v46, 2, 0
	v_lshlrev_b32_e32 v59, 3, v88
	s_clause 0x3
	global_load_b64 v[41:42], v30, s[4:5] offset:16
	global_load_b64 v[30:31], v56, s[4:5] offset:16
	global_load_b64 v[37:38], v59, s[4:5] offset:16
	global_load_b32 v84, v56, s[4:5] offset:20
	v_lshlrev_b32_e32 v56, 3, v89
	global_load_b32 v85, v59, s[4:5] offset:20
	v_lshlrev_b32_e32 v59, 3, v90
	s_clause 0x2
	global_load_b32 v60, v56, s[4:5] offset:16
	global_load_b32 v59, v59, s[4:5] offset:16
	;; [unrolled: 1-line block ×3, first 2 shown]
	v_and_or_b32 v45, 0x1f8, v45, v90
	ds_load_2addr_b32 v[43:44], v72 offset0:110 offset1:173
	v_and_or_b32 v53, 0x5f8, v53, v87
	v_lshl_add_u32 v96, v92, 2, 0
	v_lshl_add_u32 v101, v47, 2, 0
	;; [unrolled: 1-line block ×3, first 2 shown]
	ds_load_2addr_b32 v[45:46], v71 offset0:112 offset1:175
	v_lshl_add_u32 v102, v48, 2, 0
	v_lshl_add_u32 v107, v53, 2, 0
	v_and_b32_e32 v61, 7, v64
	s_wait_loadcnt_dscnt 0xc01
	v_mul_f32_e32 v55, v43, v40
	s_wait_loadcnt 0xb
	v_mul_f32_e32 v109, v44, v29
	v_and_or_b32 v52, 0x4f8, v52, v86
	v_mul_f32_e32 v40, v22, v40
	v_dual_fmac_f32 v55, v22, v39 :: v_dual_lshlrev_b32 v82, 4, v61
	v_mul_f32_e32 v29, v23, v29
	s_delay_alu instid0(VALU_DEP_4)
	v_lshl_add_u32 v106, v52, 2, 0
	s_wait_loadcnt_dscnt 0x900
	v_mul_f32_e32 v111, v46, v27
	v_and_or_b32 v54, 0x5f8, v54, v88
	v_fma_f32 v22, v43, v39, -v40
	v_mul_f32_e32 v39, v14, v25
	v_dual_mul_f32 v110, v45, v25 :: v_dual_fmac_f32 v109, v23, v28
	s_delay_alu instid0(VALU_DEP_4)
	v_lshl_add_u32 v108, v54, 2, 0
	ds_load_2addr_b32 v[47:48], v68 offset0:116 offset1:179
	ds_load_2addr_b32 v[49:50], v75 offset0:108 offset1:171
	ds_load_2addr_b32 v[51:52], v67 offset1:63
	ds_load_2addr_b32 v[53:54], v67 offset0:126 offset1:189
	ds_load_2addr_b32 v[57:58], v69 offset0:114 offset1:177
	;; [unrolled: 1-line block ×7, first 2 shown]
	v_dual_mul_f32 v27, v21, v27 :: v_dual_mul_f32 v112, v20, v25
	s_wait_loadcnt 0x8
	v_mul_f32_e32 v40, v19, v83
	v_fma_f32 v28, v44, v28, -v29
	v_dual_fmac_f32 v111, v21, v26 :: v_dual_fmac_f32 v110, v20, v24
	v_fma_f32 v26, v46, v26, -v27
	s_wait_loadcnt 0x4
	v_mul_f32_e32 v21, v16, v84
	v_lshlrev_b32_e32 v97, 4, v63
	global_wb scope:SCOPE_SE
	s_wait_loadcnt_dscnt 0x0
	v_mul_f32_e32 v113, v47, v25
	v_dual_mul_f32 v114, v49, v25 :: v_dual_mul_f32 v23, v48, v42
	v_dual_mul_f32 v25, v18, v25 :: v_dual_mul_f32 v42, v15, v42
	v_dual_mul_f32 v29, v57, v31 :: v_dual_mul_f32 v44, v87, v85
	s_delay_alu instid0(VALU_DEP_4)
	v_fmac_f32_e32 v113, v14, v24
	v_fma_f32 v14, v47, v24, -v39
	v_mul_f32_e32 v31, v12, v31
	v_mul_f32_e32 v43, v58, v38
	v_dual_mul_f32 v38, v13, v38 :: v_dual_mul_f32 v115, v50, v83
	v_dual_mul_f32 v20, v86, v84 :: v_dual_mul_f32 v83, v17, v85
	v_dual_fmac_f32 v114, v18, v24 :: v_dual_fmac_f32 v29, v12, v59
	v_sub_f32_e32 v14, v51, v14
	v_fmac_f32_e32 v23, v15, v60
	v_fma_f32 v15, v48, v60, -v42
	v_fma_f32 v12, v57, v59, -v31
	v_fmac_f32_e32 v43, v13, v56
	v_fma_f32 v13, v58, v56, -v38
	v_fma_f32 v27, v45, v24, -v112
	v_dual_fmac_f32 v115, v19, v41 :: v_dual_fmac_f32 v20, v16, v30
	v_fma_f32 v19, v49, v24, -v25
	v_fmac_f32_e32 v44, v17, v37
	v_fma_f32 v18, v50, v41, -v40
	v_fma_f32 v16, v86, v30, -v21
	;; [unrolled: 1-line block ×3, first 2 shown]
	v_dual_sub_f32 v21, v10, v113 :: v_dual_sub_f32 v12, v53, v12
	v_dual_sub_f32 v15, v52, v15 :: v_dual_sub_f32 v22, v90, v22
	v_dual_sub_f32 v24, v8, v29 :: v_dual_sub_f32 v23, v11, v23
	v_dual_sub_f32 v26, v89, v26 :: v_dual_sub_f32 v13, v54, v13
	v_sub_f32_e32 v18, v93, v18
	v_sub_f32_e32 v30, v7, v111
	v_dual_sub_f32 v25, v9, v43 :: v_dual_sub_f32 v28, v91, v28
	v_dual_sub_f32 v29, v6, v110 :: v_dual_sub_f32 v20, v0, v20
	;; [unrolled: 1-line block ×4, first 2 shown]
	v_sub_f32_e32 v37, v5, v109
	v_dual_sub_f32 v19, v92, v19 :: v_dual_sub_f32 v40, v1, v44
	v_sub_f32_e32 v39, v3, v115
	v_sub_f32_e32 v17, v95, v17
	v_fma_f32 v10, v10, 2.0, -v21
	v_fma_f32 v83, v51, 2.0, -v14
	;; [unrolled: 1-line block ×17, first 2 shown]
	s_barrier_signal -1
	s_barrier_wait -1
	global_inv scope:SCOPE_SE
	v_fma_f32 v88, v89, 2.0, -v26
	v_fma_f32 v89, v90, 2.0, -v22
	;; [unrolled: 1-line block ×7, first 2 shown]
	ds_store_2addr_b32 v96, v10, v21 offset1:4
	ds_store_2addr_b32 v98, v11, v23 offset1:4
	;; [unrolled: 1-line block ×12, first 2 shown]
	global_wb scope:SCOPE_SE
	s_wait_dscnt 0x0
	s_barrier_signal -1
	s_barrier_wait -1
	global_inv scope:SCOPE_SE
	ds_load_2addr_b32 v[43:44], v67 offset1:63
	ds_load_2addr_b32 v[59:60], v77 offset0:120 offset1:183
	ds_load_2addr_b32 v[57:58], v71 offset0:112 offset1:175
	;; [unrolled: 1-line block ×11, first 2 shown]
	global_wb scope:SCOPE_SE
	s_wait_dscnt 0x0
	s_barrier_signal -1
	s_barrier_wait -1
	global_inv scope:SCOPE_SE
	ds_store_2addr_b32 v96, v83, v14 offset1:4
	ds_store_2addr_b32 v98, v84, v15 offset1:4
	;; [unrolled: 1-line block ×12, first 2 shown]
	global_wb scope:SCOPE_SE
	s_wait_dscnt 0x0
	s_barrier_signal -1
	s_barrier_wait -1
	global_inv scope:SCOPE_SE
	s_clause 0x1
	global_load_b128 v[0:3], v82, s[4:5] offset:48
	global_load_b128 v[4:7], v97, s[4:5] offset:48
	v_and_b32_e32 v82, 7, v66
	v_and_b32_e32 v83, 7, v65
	;; [unrolled: 1-line block ×5, first 2 shown]
	v_lshlrev_b32_e32 v8, 4, v82
	v_lshlrev_b32_e32 v12, 4, v83
	v_lshlrev_b32_e32 v20, 4, v86
	v_lshlrev_b32_e32 v24, 4, v87
	v_lshlrev_b32_e32 v28, 4, v88
	s_clause 0x1
	global_load_b128 v[8:11], v8, s[4:5] offset:48
	global_load_b128 v[12:15], v12, s[4:5] offset:48
	v_and_b32_e32 v85, 7, v81
	global_load_b128 v[20:23], v20, s[4:5] offset:48
	v_lshrrev_b32_e32 v90, 3, v62
	v_lshrrev_b32_e32 v91, 3, v66
	;; [unrolled: 1-line block ×3, first 2 shown]
	v_lshlrev_b32_e32 v16, 4, v85
	v_and_b32_e32 v89, 0xff, v64
	v_mul_u32_u24_e32 v90, 24, v90
	v_mul_u32_u24_e32 v91, 24, v91
	;; [unrolled: 1-line block ×3, first 2 shown]
	s_clause 0x2
	global_load_b128 v[16:19], v16, s[4:5] offset:48
	global_load_b128 v[24:27], v24, s[4:5] offset:48
	;; [unrolled: 1-line block ×3, first 2 shown]
	v_or_b32_e32 v63, v90, v63
	v_or_b32_e32 v82, v91, v82
	ds_load_2addr_b32 v[90:91], v71 offset0:112 offset1:175
	v_lshrrev_b32_e32 v93, 3, v65
	v_lshrrev_b32_e32 v94, 3, v81
	v_and_b32_e32 v99, 0xff, v62
	v_lshrrev_b32_e32 v95, 3, v80
	v_lshrrev_b32_e32 v96, 3, v78
	v_lshrrev_b32_e32 v97, 3, v79
	v_or_b32_e32 v61, v84, v61
	v_mul_u32_u24_e32 v93, 24, v93
	v_mul_u32_u24_e32 v94, 24, v94
	;; [unrolled: 1-line block ×5, first 2 shown]
	v_or_b32_e32 v83, v93, v83
	v_or_b32_e32 v93, v94, v85
	;; [unrolled: 1-line block ×5, first 2 shown]
	ds_load_2addr_b32 v[87:88], v77 offset0:120 offset1:183
	v_lshl_add_u32 v106, v82, 2, 0
	v_lshl_add_u32 v108, v93, 2, 0
	;; [unrolled: 1-line block ×7, first 2 shown]
	v_and_b32_e32 v92, 0xff, v65
	v_lshl_add_u32 v63, v63, 2, 0
	s_wait_loadcnt_dscnt 0x701
	v_mul_f32_e32 v115, v90, v3
	s_wait_loadcnt_dscnt 0x600
	v_dual_mul_f32 v3, v57, v3 :: v_dual_mul_f32 v116, v88, v5
	s_delay_alu instid0(VALU_DEP_2) | instskip(NEXT) | instid1(VALU_DEP_2)
	v_fmac_f32_e32 v115, v57, v2
	v_fma_f32 v57, v90, v2, -v3
	v_mul_f32_e32 v2, v60, v5
	v_mul_lo_u16 v98, 0xab, v89
	v_dual_fmac_f32 v116, v60, v4 :: v_dual_and_b32 v89, 0xff, v66
	s_delay_alu instid0(VALU_DEP_3) | instskip(NEXT) | instid1(VALU_DEP_3)
	v_fma_f32 v60, v88, v4, -v2
	v_lshrrev_b16 v84, 12, v98
	v_mul_lo_u16 v98, 0xab, v99
	s_delay_alu instid0(VALU_DEP_4) | instskip(NEXT) | instid1(VALU_DEP_3)
	v_mul_lo_u16 v99, 0xab, v89
	v_mul_lo_u16 v61, v84, 24
	s_delay_alu instid0(VALU_DEP_3) | instskip(NEXT) | instid1(VALU_DEP_3)
	v_lshrrev_b16 v85, 12, v98
	v_lshrrev_b16 v86, 12, v99
	s_delay_alu instid0(VALU_DEP_3) | instskip(NEXT) | instid1(VALU_DEP_3)
	v_sub_nc_u16 v61, v64, v61
	v_mul_lo_u16 v97, v85, 24
	s_delay_alu instid0(VALU_DEP_3) | instskip(NEXT) | instid1(VALU_DEP_2)
	v_mul_lo_u16 v112, v86, 24
	v_sub_nc_u16 v82, v62, v97
	ds_load_2addr_b32 v[93:94], v74 offset0:118 offset1:181
	ds_load_2addr_b32 v[95:96], v72 offset0:110 offset1:173
	ds_load_2addr_b32 v[97:98], v68 offset0:116 offset1:179
	ds_load_2addr_b32 v[99:100], v75 offset0:108 offset1:171
	ds_load_2addr_b32 v[101:102], v69 offset0:114 offset1:177
	ds_load_2addr_b32 v[103:104], v73 offset0:106 offset1:169
	ds_load_2addr_b32 v[2:3], v67 offset0:126 offset1:189
	ds_load_2addr_b32 v[4:5], v76 offset0:124 offset1:187
	v_and_b32_e32 v82, 0xff, v82
	s_wait_loadcnt_dscnt 0x507
	v_mul_f32_e32 v88, v93, v9
	s_wait_dscnt 0x6
	v_dual_mul_f32 v90, v95, v11 :: v_dual_and_b32 v83, 0xff, v61
	v_mul_f32_e32 v61, v87, v1
	v_mul_f32_e32 v1, v59, v1
	s_delay_alu instid0(VALU_DEP_3) | instskip(SKIP_1) | instid1(VALU_DEP_4)
	v_dual_mul_f32 v9, v55, v9 :: v_dual_fmac_f32 v90, v53, v10
	v_mul_f32_e32 v11, v53, v11
	v_fmac_f32_e32 v61, v59, v0
	s_delay_alu instid0(VALU_DEP_4) | instskip(SKIP_4) | instid1(VALU_DEP_4)
	v_fma_f32 v59, v87, v0, -v1
	v_mul_f32_e32 v87, v91, v7
	v_dual_mul_f32 v7, v58, v7 :: v_dual_lshlrev_b32 v114, 4, v82
	v_fmac_f32_e32 v88, v55, v8
	v_fma_f32 v8, v93, v8, -v9
	v_fmac_f32_e32 v87, v58, v6
	s_delay_alu instid0(VALU_DEP_4)
	v_fma_f32 v58, v91, v6, -v7
	s_wait_loadcnt 0x4
	v_mul_f32_e32 v91, v94, v13
	v_fma_f32 v9, v95, v10, -v11
	v_mul_f32_e32 v11, v96, v15
	v_dual_mul_f32 v10, v56, v13 :: v_dual_lshlrev_b32 v113, 4, v83
	ds_load_2addr_b32 v[0:1], v67 offset1:63
	v_mul_f32_e32 v13, v54, v15
	s_wait_loadcnt_dscnt 0x305
	v_dual_fmac_f32 v11, v54, v14 :: v_dual_mul_f32 v54, v100, v23
	s_wait_loadcnt_dscnt 0x4
	v_dual_fmac_f32 v91, v56, v12 :: v_dual_mul_f32 v56, v102, v29
	ds_load_2addr_b32 v[6:7], v70 offset0:122 offset1:185
	v_mul_f32_e32 v15, v97, v17
	v_mul_f32_e32 v17, v51, v17
	;; [unrolled: 1-line block ×3, first 2 shown]
	v_fma_f32 v10, v94, v12, -v10
	v_dual_mul_f32 v12, v49, v19 :: v_dual_mul_f32 v19, v98, v21
	v_mul_f32_e32 v21, v52, v21
	s_wait_dscnt 0x4
	v_mul_f32_e32 v55, v103, v27
	v_dual_mul_f32 v27, v45, v27 :: v_dual_fmac_f32 v56, v48, v28
	v_fma_f32 v13, v96, v14, -v13
	v_dual_mul_f32 v14, v50, v23 :: v_dual_fmac_f32 v15, v51, v16
	v_fmac_f32_e32 v53, v49, v18
	v_fma_f32 v12, v99, v18, -v12
	v_mul_f32_e32 v18, v104, v31
	v_fma_f32 v16, v97, v16, -v17
	s_wait_dscnt 0x3
	v_dual_mul_f32 v17, v48, v29 :: v_dual_add_f32 v94, v3, v10
	v_fmac_f32_e32 v54, v50, v22
	v_fma_f32 v14, v100, v22, -v14
	v_fmac_f32_e32 v55, v45, v26
	v_fma_f32 v22, v103, v26, -v27
	v_dual_add_f32 v26, v61, v115 :: v_dual_fmac_f32 v19, v52, v20
	v_fma_f32 v20, v98, v20, -v21
	v_dual_mul_f32 v23, v101, v25 :: v_dual_add_f32 v48, v60, v58
	v_dual_mul_f32 v25, v47, v25 :: v_dual_add_f32 v50, v41, v88
	v_mul_f32_e32 v29, v46, v31
	v_fma_f32 v17, v102, v28, -v17
	s_wait_dscnt 0x2
	v_dual_sub_f32 v27, v59, v57 :: v_dual_add_f32 v102, v5, v20
	v_fmac_f32_e32 v23, v47, v24
	v_fma_f32 v21, v101, v24, -v25
	v_dual_fmac_f32 v18, v46, v30 :: v_dual_add_f32 v25, v43, v61
	s_wait_dscnt 0x1
	v_add_f32_e32 v28, v0, v59
	v_sub_f32_e32 v46, v60, v58
	v_add_f32_e32 v51, v88, v90
	v_sub_f32_e32 v52, v8, v9
	v_sub_f32_e32 v93, v10, v13
	v_dual_add_f32 v10, v10, v13 :: v_dual_add_f32 v31, v44, v116
	v_add_f32_e32 v100, v19, v54
	v_add_f32_e32 v98, v4, v16
	v_sub_f32_e32 v101, v20, v14
	v_dual_add_f32 v20, v20, v14 :: v_dual_add_f32 v47, v1, v60
	v_sub_f32_e32 v60, v88, v90
	v_add_f32_e32 v88, v91, v11
	v_dual_add_f32 v95, v39, v15 :: v_dual_add_f32 v14, v102, v14
	v_add_f32_e32 v96, v15, v53
	v_fma_f32 v24, v104, v30, -v29
	v_add_f32_e32 v29, v59, v57
	v_dual_add_f32 v59, v2, v8 :: v_dual_add_f32 v28, v28, v57
	v_add_f32_e32 v8, v8, v9
	v_sub_f32_e32 v97, v16, v12
	v_add_f32_e32 v16, v16, v12
	v_sub_f32_e32 v30, v61, v115
	v_dual_add_f32 v45, v116, v87 :: v_dual_add_f32 v118, v38, v56
	v_sub_f32_e32 v49, v116, v87
	v_add_f32_e32 v61, v42, v91
	v_dual_sub_f32 v91, v91, v11 :: v_dual_add_f32 v12, v98, v12
	v_dual_add_f32 v99, v40, v19 :: v_dual_fmac_f32 v42, -0.5, v88
	v_dual_fmac_f32 v3, -0.5, v10 :: v_dual_add_f32 v10, v95, v53
	v_fmac_f32_e32 v40, -0.5, v100
	v_sub_f32_e32 v57, v17, v24
	v_fma_f32 v26, -0.5, v26, v43
	v_fma_f32 v2, -0.5, v8, v2
	;; [unrolled: 1-line block ×3, first 2 shown]
	v_add_f32_e32 v31, v31, v87
	v_fma_f32 v4, -0.5, v16, v4
	s_wait_dscnt 0x0
	v_add_f32_e32 v87, v7, v17
	v_dual_add_f32 v17, v17, v24 :: v_dual_fmamk_f32 v88, v91, 0x3f5db3d7, v3
	v_dual_add_f32 v104, v23, v55 :: v_dual_add_f32 v117, v6, v21
	s_delay_alu instid0(VALU_DEP_2)
	v_dual_sub_f32 v116, v21, v22 :: v_dual_fmac_f32 v7, -0.5, v17
	v_fmamk_f32 v17, v27, 0xbf5db3d7, v26
	v_dual_fmac_f32 v26, 0x3f5db3d7, v27 :: v_dual_sub_f32 v15, v15, v53
	v_dual_add_f32 v21, v21, v22 :: v_dual_fmac_f32 v44, -0.5, v45
	v_add_f32_e32 v25, v25, v115
	v_dual_add_f32 v22, v117, v22 :: v_dual_fmac_f32 v1, -0.5, v48
	v_fma_f32 v0, -0.5, v29, v0
	v_fma_f32 v16, -0.5, v104, v37
	v_dual_add_f32 v45, v50, v90 :: v_dual_fmamk_f32 v90, v15, 0x3f5db3d7, v4
	v_add_f32_e32 v115, v56, v18
	v_add_f32_e32 v103, v37, v23
	v_sub_f32_e32 v23, v23, v55
	v_fma_f32 v29, -0.5, v51, v41
	v_fma_f32 v6, -0.5, v21, v6
	v_dual_fmac_f32 v4, 0xbf5db3d7, v15 :: v_dual_add_f32 v21, v87, v24
	v_fmamk_f32 v24, v30, 0x3f5db3d7, v0
	v_fmac_f32_e32 v0, 0xbf5db3d7, v30
	v_dual_fmamk_f32 v30, v49, 0x3f5db3d7, v1 :: v_dual_sub_f32 v19, v19, v54
	v_fmac_f32_e32 v38, -0.5, v115
	v_dual_sub_f32 v56, v56, v18 :: v_dual_fmac_f32 v5, -0.5, v20
	v_and_b32_e32 v102, 0xffff, v78
	v_add_f32_e32 v20, v103, v55
	v_add_f32_e32 v119, v47, v58
	v_fmamk_f32 v27, v46, 0xbf5db3d7, v44
	v_fmac_f32_e32 v44, 0x3f5db3d7, v46
	v_fmac_f32_e32 v1, 0xbf5db3d7, v49
	v_dual_add_f32 v9, v59, v9 :: v_dual_add_f32 v18, v118, v18
	v_add_f32_e32 v47, v99, v54
	v_fmamk_f32 v37, v52, 0xbf5db3d7, v29
	v_fmamk_f32 v87, v60, 0x3f5db3d7, v2
	v_fmac_f32_e32 v2, 0xbf5db3d7, v60
	v_fmamk_f32 v39, v93, 0xbf5db3d7, v42
	v_dual_fmac_f32 v42, 0x3f5db3d7, v93 :: v_dual_add_f32 v11, v61, v11
	v_fmac_f32_e32 v3, 0xbf5db3d7, v91
	v_fmamk_f32 v41, v97, 0xbf5db3d7, v8
	v_fmamk_f32 v15, v101, 0xbf5db3d7, v40
	v_fmac_f32_e32 v40, 0x3f5db3d7, v101
	v_fmamk_f32 v93, v23, 0x3f5db3d7, v6
	v_fmac_f32_e32 v6, 0xbf5db3d7, v23
	;; [unrolled: 2-line block ×3, first 2 shown]
	global_wb scope:SCOPE_SE
	s_barrier_signal -1
	s_barrier_wait -1
	global_inv scope:SCOPE_SE
	v_dual_add_f32 v13, v94, v13 :: v_dual_fmamk_f32 v94, v56, 0x3f5db3d7, v7
	v_dual_fmac_f32 v29, 0x3f5db3d7, v52 :: v_dual_fmac_f32 v8, 0x3f5db3d7, v97
	v_fmamk_f32 v91, v19, 0x3f5db3d7, v5
	v_fmac_f32_e32 v5, 0xbf5db3d7, v19
	v_fmamk_f32 v19, v116, 0xbf5db3d7, v16
	v_fmac_f32_e32 v16, 0x3f5db3d7, v116
	v_fmac_f32_e32 v7, 0xbf5db3d7, v56
	ds_store_2addr_b32 v105, v25, v17 offset1:8
	ds_store_b32 v105, v26 offset:64
	ds_store_2addr_b32 v63, v31, v27 offset1:8
	ds_store_b32 v63, v44 offset:64
	;; [unrolled: 2-line block ×8, first 2 shown]
	global_wb scope:SCOPE_SE
	s_wait_dscnt 0x0
	s_barrier_signal -1
	s_barrier_wait -1
	global_inv scope:SCOPE_SE
	ds_load_2addr_b32 v[44:45], v67 offset1:63
	ds_load_2addr_b32 v[60:61], v77 offset0:120 offset1:183
	ds_load_2addr_b32 v[58:59], v71 offset0:112 offset1:175
	;; [unrolled: 1-line block ×11, first 2 shown]
	global_wb scope:SCOPE_SE
	s_wait_dscnt 0x0
	s_barrier_signal -1
	s_barrier_wait -1
	global_inv scope:SCOPE_SE
	ds_store_2addr_b32 v105, v28, v24 offset1:8
	ds_store_b32 v105, v0 offset:64
	ds_store_2addr_b32 v63, v119, v30 offset1:8
	ds_store_b32 v63, v1 offset:64
	;; [unrolled: 2-line block ×8, first 2 shown]
	global_wb scope:SCOPE_SE
	s_wait_dscnt 0x0
	s_barrier_signal -1
	s_barrier_wait -1
	global_inv scope:SCOPE_SE
	s_clause 0x1
	global_load_b128 v[0:3], v113, s[4:5] offset:176
	global_load_b128 v[4:7], v114, s[4:5] offset:176
	v_mul_lo_u16 v8, 0xab, v92
	v_sub_nc_u16 v9, v66, v112
	v_and_b32_e32 v91, 0xffff, v80
	v_lshlrev_b32_e32 v105, 2, v83
	v_lshlrev_b32_e32 v106, 2, v82
	v_lshrrev_b16 v87, 12, v8
	ds_load_2addr_b32 v[82:83], v77 offset0:120 offset1:183
	v_and_b32_e32 v88, 0xff, v9
	v_mul_u32_u24_e32 v12, 0xaaab, v91
	v_mul_lo_u16 v89, v89, 57
	v_mul_lo_u16 v9, v87, 24
	v_and_b32_e32 v84, 0xffff, v84
	v_and_b32_e32 v90, 0xffff, v81
	v_mul_u32_u24_e32 v13, 0xaaab, v102
	v_lshrrev_b32_e32 v96, 20, v12
	v_sub_nc_u16 v14, v65, v9
	v_and_b32_e32 v99, 0xffff, v79
	v_mul_u32_u24_e32 v102, 0xe38f, v102
	v_lshrrev_b16 v112, 12, v89
	v_mul_u32_u24_e32 v89, 0x120, v84
	v_and_b32_e32 v84, 0xffff, v85
	v_mul_u32_u24_e32 v8, 0xaaab, v90
	v_and_b32_e32 v94, 0xff, v14
	v_lshrrev_b32_e32 v98, 20, v13
	v_mul_lo_u16 v13, v96, 24
	v_mul_u32_u24_e32 v14, 0xaaab, v99
	v_lshrrev_b32_e32 v115, 22, v102
	v_mul_u32_u24_e32 v102, 0x120, v84
	v_lshrrev_b32_e32 v95, 20, v8
	v_sub_nc_u16 v17, v80, v13
	v_lshrrev_b32_e32 v100, 20, v14
	v_mul_lo_u16 v16, v98, 24
	v_add3_u32 v119, 0, v102, v106
	v_mul_lo_u16 v15, v95, 24
	v_mul_u32_u24_e32 v90, 0xe38f, v90
	v_add3_u32 v118, 0, v89, v105
	v_sub_nc_u16 v16, v78, v16
	v_lshlrev_b32_e32 v8, 4, v88
	v_sub_nc_u16 v12, v81, v15
	v_lshrrev_b32_e32 v113, 22, v90
	v_mul_u32_u24_e32 v90, 0x120, v96
	v_mov_b32_e32 v37, 0
	v_mul_lo_u16 v96, 0x48, v112
	v_and_b32_e32 v97, 0xffff, v12
	global_load_b128 v[8:11], v8, s[4:5] offset:176
	v_mul_u32_u24_e32 v91, 0xe38f, v91
	v_lshlrev_b32_e32 v88, 2, v88
	v_sub_nc_u16 v84, v66, v96
	v_lshlrev_b32_e32 v18, 4, v97
	v_lshlrev_b32_e32 v89, 2, v97
	v_lshrrev_b32_e32 v114, 22, v91
	v_mul_u32_u24_e32 v91, 0x120, v98
	v_and_b32_e32 v117, 0xff, v84
	global_load_b128 v[20:23], v18, s[4:5] offset:176
	v_mul_lo_u16 v92, v92, 57
	v_mul_lo_u16 v116, 0x48, v114
	s_delay_alu instid0(VALU_DEP_2) | instskip(NEXT) | instid1(VALU_DEP_1)
	v_lshrrev_b16 v92, 12, v92
	v_mul_lo_u16 v98, 0x48, v92
	s_delay_alu instid0(VALU_DEP_1) | instskip(SKIP_3) | instid1(VALU_DEP_2)
	v_sub_nc_u16 v98, v65, v98
	s_wait_loadcnt_dscnt 0x300
	v_mul_f32_e32 v102, v82, v1
	v_mul_f32_e32 v1, v60, v1
	v_dual_fmac_f32 v102, v60, v0 :: v_dual_and_b32 v101, 0xffff, v17
	v_mul_lo_u16 v17, v100, 24
	s_delay_alu instid0(VALU_DEP_3) | instskip(SKIP_1) | instid1(VALU_DEP_4)
	v_fma_f32 v82, v82, v0, -v1
	v_and_b32_e32 v103, 0xffff, v16
	v_lshlrev_b32_e32 v16, 4, v101
	s_delay_alu instid0(VALU_DEP_4) | instskip(SKIP_1) | instid1(VALU_DEP_4)
	v_sub_nc_u16 v24, v79, v17
	v_lshlrev_b32_e32 v97, 2, v101
	v_lshlrev_b32_e32 v25, 4, v103
	;; [unrolled: 1-line block ×3, first 2 shown]
	s_delay_alu instid0(VALU_DEP_4) | instskip(NEXT) | instid1(VALU_DEP_4)
	v_and_b32_e32 v104, 0xffff, v24
	v_add3_u32 v123, 0, v90, v97
	global_load_b128 v[24:27], v25, s[4:5] offset:176
	v_add3_u32 v101, 0, v91, v101
	v_lshlrev_b32_e32 v28, 4, v104
	s_wait_loadcnt 0x3
	v_dual_mul_f32 v104, v83, v5 :: v_dual_lshlrev_b32 v103, 2, v104
	s_clause 0x1
	global_load_b128 v[28:31], v28, s[4:5] offset:176
	global_load_b128 v[16:19], v16, s[4:5] offset:176
	v_dual_fmac_f32 v104, v61, v4 :: v_dual_and_b32 v85, 0xffff, v86
	v_and_b32_e32 v86, 0xffff, v87
	v_mul_u32_u24_e32 v87, 0x120, v95
	v_mul_u32_u24_e32 v95, 0x120, v100
	v_mul_lo_u16 v100, 0x48, v113
	v_mul_u32_u24_e32 v96, 0x120, v85
	ds_load_2addr_b32 v[84:85], v71 offset0:112 offset1:175
	v_add3_u32 v122, 0, v87, v89
	v_add3_u32 v124, 0, v95, v103
	;; [unrolled: 1-line block ×3, first 2 shown]
	s_wait_dscnt 0x0
	v_mul_f32_e32 v103, v84, v3
	v_mul_f32_e32 v3, v58, v3
	s_delay_alu instid0(VALU_DEP_2)
	v_fmac_f32_e32 v103, v58, v2
	v_lshlrev_b32_e32 v15, 4, v94
	v_mul_u32_u24_e32 v86, 0x120, v86
	v_lshlrev_b32_e32 v94, 2, v94
	v_fma_f32 v84, v84, v2, -v3
	v_mul_f32_e32 v2, v61, v5
	global_load_b128 v[12:15], v15, s[4:5] offset:176
	v_mul_f32_e32 v5, v85, v7
	v_add3_u32 v121, 0, v86, v94
	ds_load_2addr_b32 v[86:87], v74 offset0:118 offset1:181
	ds_load_2addr_b32 v[88:89], v72 offset0:110 offset1:173
	;; [unrolled: 1-line block ×5, first 2 shown]
	v_mul_f32_e32 v7, v59, v7
	v_fma_f32 v4, v83, v4, -v2
	ds_load_2addr_b32 v[60:61], v76 offset0:124 offset1:187
	v_fmac_f32_e32 v5, v59, v6
	ds_load_2addr_b32 v[0:1], v73 offset0:106 offset1:169
	v_fma_f32 v6, v85, v6, -v7
	s_wait_loadcnt 0x5
	v_mul_f32_e32 v7, v56, v9
	ds_load_2addr_b32 v[2:3], v67 offset1:63
	ds_load_2addr_b32 v[58:59], v67 offset0:126 offset1:189
	v_add_nc_u32_e32 v63, -9, v64
	s_wait_dscnt 0x8
	v_mul_f32_e32 v83, v86, v9
	v_fma_f32 v7, v86, v8, -v7
	s_wait_loadcnt_dscnt 0x304
	v_mul_f32_e32 v85, v96, v25
	v_mul_f32_e32 v25, v48, v25
	s_wait_dscnt 0x2
	v_mul_f32_e32 v86, v0, v27
	s_delay_alu instid0(VALU_DEP_3) | instskip(NEXT) | instid1(VALU_DEP_2)
	v_fmac_f32_e32 v85, v48, v24
	v_dual_fmac_f32 v83, v56, v8 :: v_dual_fmac_f32 v86, v46, v26
	s_delay_alu instid0(VALU_DEP_1) | instskip(SKIP_3) | instid1(VALU_DEP_2)
	v_add_f32_e32 v105, v85, v86
	s_wait_loadcnt 0x0
	v_mul_f32_e32 v56, v89, v15
	v_mul_f32_e32 v15, v55, v15
	v_fmac_f32_e32 v56, v55, v14
	v_mul_f32_e32 v55, v91, v17
	s_delay_alu instid0(VALU_DEP_3) | instskip(SKIP_4) | instid1(VALU_DEP_4)
	v_fma_f32 v14, v89, v14, -v15
	v_mul_f32_e32 v15, v53, v17
	v_mul_f32_e32 v17, v95, v19
	;; [unrolled: 1-line block ×3, first 2 shown]
	v_fmac_f32_e32 v55, v53, v16
	v_fma_f32 v15, v91, v16, -v15
	s_delay_alu instid0(VALU_DEP_4)
	v_fmac_f32_e32 v17, v51, v18
	v_mul_f32_e32 v9, v88, v11
	v_mul_f32_e32 v11, v54, v11
	v_fma_f32 v16, v95, v18, -v19
	v_fma_f32 v18, v96, v24, -v25
	v_add_f32_e32 v24, v44, v102
	v_dual_add_f32 v96, v55, v17 :: v_dual_fmac_f32 v9, v54, v10
	v_mul_f32_e32 v54, v87, v13
	s_delay_alu instid0(VALU_DEP_3) | instskip(SKIP_1) | instid1(VALU_DEP_3)
	v_dual_mul_f32 v13, v57, v13 :: v_dual_add_f32 v24, v24, v103
	v_sub_f32_e32 v25, v82, v84
	v_fmac_f32_e32 v54, v57, v12
	s_delay_alu instid0(VALU_DEP_3)
	v_fma_f32 v12, v87, v12, -v13
	v_mul_f32_e32 v13, v52, v21
	v_mul_f32_e32 v57, v90, v21
	;; [unrolled: 1-line block ×4, first 2 shown]
	v_sub_f32_e32 v87, v12, v14
	v_fma_f32 v13, v90, v20, -v13
	v_fmac_f32_e32 v57, v52, v20
	v_fmac_f32_e32 v21, v50, v22
	v_fma_f32 v20, v94, v22, -v23
	v_dual_mul_f32 v22, v46, v27 :: v_dual_mul_f32 v23, v97, v29
	v_dual_sub_f32 v46, v4, v6 :: v_dual_mul_f32 v27, v49, v29
	v_add_f32_e32 v94, v60, v13
	v_dual_sub_f32 v48, v104, v5 :: v_dual_mul_f32 v29, v1, v31
	v_mul_f32_e32 v31, v47, v31
	v_fmac_f32_e32 v23, v49, v28
	v_fma_f32 v0, v0, v26, -v22
	s_delay_alu instid0(VALU_DEP_4) | instskip(NEXT) | instid1(VALU_DEP_4)
	v_dual_add_f32 v22, v102, v103 :: v_dual_fmac_f32 v29, v47, v30
	v_fma_f32 v1, v1, v30, -v31
	v_dual_add_f32 v30, v45, v104 :: v_dual_add_f32 v31, v104, v5
	v_fma_f32 v19, v97, v28, -v27
	v_dual_sub_f32 v28, v102, v103 :: v_dual_sub_f32 v91, v13, v20
	s_delay_alu instid0(VALU_DEP_3)
	v_add_f32_e32 v5, v30, v5
	v_add_f32_e32 v30, v23, v29
	v_fma_f32 v8, v88, v10, -v11
	ds_load_2addr_b32 v[10:11], v70 offset0:122 offset1:185
	v_add_f32_e32 v13, v13, v20
	v_sub_f32_e32 v103, v18, v0
	v_fma_f32 v22, -0.5, v22, v44
	s_wait_dscnt 0x2
	v_add_f32_e32 v47, v3, v4
	s_wait_alu 0xf1ff
	v_cndmask_b32_e64 v93, v63, v62, s0
	v_dual_add_f32 v26, v2, v82 :: v_dual_sub_f32 v51, v7, v8
	s_wait_dscnt 0x1
	v_dual_add_f32 v52, v58, v7 :: v_dual_add_f32 v7, v7, v8
	v_fma_f32 v13, -0.5, v13, v60
	v_add_f32_e32 v4, v4, v6
	v_add_f32_e32 v47, v47, v6
	;; [unrolled: 1-line block ×5, first 2 shown]
	v_dual_sub_f32 v53, v83, v9 :: v_dual_add_f32 v26, v26, v84
	v_fmac_f32_e32 v45, -0.5, v31
	s_wait_dscnt 0x0
	v_dual_fmac_f32 v3, -0.5, v4 :: v_dual_add_f32 v106, v10, v18
	v_dual_add_f32 v18, v18, v0 :: v_dual_add_f32 v31, v11, v19
	v_fmac_f32_e32 v11, -0.5, v6
	v_sub_f32_e32 v19, v19, v1
	v_add_f32_e32 v88, v59, v12
	s_delay_alu instid0(VALU_DEP_4)
	v_fma_f32 v18, -0.5, v18, v10
	v_fmamk_f32 v10, v25, 0xbf5db3d7, v22
	v_fmac_f32_e32 v22, 0x3f5db3d7, v25
	v_add_f32_e32 v89, v40, v57
	v_add_f32_e32 v90, v57, v21
	v_sub_f32_e32 v57, v57, v21
	v_dual_add_f32 v27, v82, v84 :: v_dual_add_f32 v84, v39, v23
	v_add_f32_e32 v82, v43, v54
	s_delay_alu instid0(VALU_DEP_4) | instskip(SKIP_1) | instid1(VALU_DEP_4)
	v_fma_f32 v6, -0.5, v90, v40
	v_sub_f32_e32 v23, v23, v29
	v_fma_f32 v2, -0.5, v27, v2
	v_fma_f32 v27, -0.5, v7, v58
	;; [unrolled: 1-line block ×3, first 2 shown]
	v_add_f32_e32 v49, v42, v83
	v_add_f32_e32 v83, v54, v56
	v_fmac_f32_e32 v39, -0.5, v30
	v_dual_add_f32 v12, v12, v14 :: v_dual_add_f32 v97, v61, v15
	s_delay_alu instid0(VALU_DEP_3)
	v_dual_add_f32 v4, v49, v9 :: v_dual_fmac_f32 v43, -0.5, v83
	v_add_f32_e32 v9, v89, v21
	v_dual_add_f32 v21, v106, v0 :: v_dual_add_f32 v0, v84, v29
	v_add_f32_e32 v29, v31, v1
	v_fma_f32 v1, -0.5, v50, v42
	v_add_f32_e32 v102, v15, v16
	v_sub_f32_e32 v15, v15, v16
	v_fmamk_f32 v25, v28, 0x3f5db3d7, v2
	v_fmac_f32_e32 v2, 0xbf5db3d7, v28
	v_fmamk_f32 v28, v46, 0xbf5db3d7, v45
	v_fmac_f32_e32 v45, 0x3f5db3d7, v46
	v_dual_fmamk_f32 v46, v91, 0xbf5db3d7, v6 :: v_dual_add_f32 v95, v41, v55
	v_fmac_f32_e32 v41, -0.5, v96
	v_add_f32_e32 v44, v52, v8
	v_add_f32_e32 v8, v82, v56
	v_fmamk_f32 v30, v51, 0xbf5db3d7, v1
	v_fmac_f32_e32 v1, 0x3f5db3d7, v51
	v_fmamk_f32 v31, v87, 0xbf5db3d7, v43
	v_fmac_f32_e32 v6, 0x3f5db3d7, v91
	;; [unrolled: 2-line block ×3, first 2 shown]
	v_fmamk_f32 v51, v19, 0xbf5db3d7, v39
	global_wb scope:SCOPE_SE
	s_barrier_signal -1
	s_barrier_wait -1
	global_inv scope:SCOPE_SE
	v_dual_sub_f32 v54, v54, v56 :: v_dual_sub_f32 v55, v55, v17
	v_fmac_f32_e32 v59, -0.5, v12
	v_dual_add_f32 v12, v94, v20 :: v_dual_add_f32 v17, v95, v17
	v_fmac_f32_e32 v61, -0.5, v102
	v_dual_add_f32 v20, v104, v86 :: v_dual_fmac_f32 v43, 0x3f5db3d7, v87
	v_fmamk_f32 v49, v15, 0xbf5db3d7, v41
	v_fmac_f32_e32 v41, 0x3f5db3d7, v15
	v_fmac_f32_e32 v39, 0x3f5db3d7, v19
	ds_store_2addr_b32 v118, v24, v10 offset1:24
	ds_store_b32 v118, v22 offset:192
	ds_store_2addr_b32 v119, v5, v28 offset1:24
	ds_store_b32 v119, v45 offset:192
	;; [unrolled: 2-line block ×8, first 2 shown]
	global_wb scope:SCOPE_SE
	s_wait_dscnt 0x0
	s_barrier_signal -1
	s_barrier_wait -1
	global_inv scope:SCOPE_SE
	ds_load_2addr_b32 v[9:10], v67 offset1:63
	ds_load_2addr_b32 v[30:31], v77 offset0:120 offset1:183
	ds_load_2addr_b32 v[51:52], v71 offset0:112 offset1:175
	;; [unrolled: 1-line block ×11, first 2 shown]
	v_dual_sub_f32 v85, v85, v86 :: v_dual_lshlrev_b32 v4, 4, v117
	v_fmamk_f32 v38, v48, 0x3f5db3d7, v3
	v_fmac_f32_e32 v3, 0xbf5db3d7, v48
	v_fmamk_f32 v40, v53, 0x3f5db3d7, v27
	v_add_f32_e32 v14, v88, v14
	v_dual_add_f32 v16, v97, v16 :: v_dual_fmac_f32 v27, 0xbf5db3d7, v53
	v_fmamk_f32 v42, v54, 0x3f5db3d7, v59
	v_fmac_f32_e32 v59, 0xbf5db3d7, v54
	v_fmamk_f32 v48, v57, 0x3f5db3d7, v13
	v_fmac_f32_e32 v13, 0xbf5db3d7, v57
	;; [unrolled: 2-line block ×5, first 2 shown]
	global_wb scope:SCOPE_SE
	s_wait_dscnt 0x0
	s_barrier_signal -1
	s_barrier_wait -1
	global_inv scope:SCOPE_SE
	ds_store_2addr_b32 v118, v26, v25 offset1:24
	ds_store_b32 v118, v2 offset:192
	ds_store_2addr_b32 v119, v47, v38 offset1:24
	ds_store_b32 v119, v3 offset:192
	;; [unrolled: 2-line block ×8, first 2 shown]
	v_and_b32_e32 v3, 0xff, v98
	v_mul_u32_u24_e32 v99, 0xe38f, v99
	global_wb scope:SCOPE_SE
	s_wait_dscnt 0x0
	s_barrier_signal -1
	s_barrier_wait -1
	v_lshlrev_b32_e32 v12, 4, v3
	global_inv scope:SCOPE_SE
	v_sub_nc_u16 v2, v81, v100
	v_lshrrev_b32_e32 v11, 22, v99
	s_clause 0x1
	global_load_b128 v[26:29], v4, s[4:5] offset:560
	global_load_b128 v[40:43], v12, s[4:5] offset:560
	v_sub_nc_u16 v4, v80, v116
	v_mul_lo_u16 v13, 0x48, v115
	v_lshlrev_b64_e32 v[62:63], 3, v[36:37]
	v_lshlrev_b32_e32 v36, 1, v93
	v_and_b32_e32 v2, 0xffff, v2
	v_mul_lo_u16 v11, 0x48, v11
	v_and_b32_e32 v4, 0xffff, v4
	v_sub_nc_u16 v12, v78, v13
	v_lshlrev_b64_e32 v[36:37], 3, v[36:37]
	v_add_co_u32 v62, s0, s4, v62
	v_lshlrev_b32_e32 v14, 4, v2
	v_lshlrev_b32_e32 v13, 4, v4
	v_and_b32_e32 v12, 0xffff, v12
	v_sub_nc_u16 v11, v79, v11
	s_wait_alu 0xf1ff
	v_add_co_ci_u32_e64 v63, s0, s5, v63, s0
	v_add_co_u32 v36, s0, s4, v36
	s_wait_alu 0xf1ff
	v_add_co_ci_u32_e64 v37, s0, s5, v37, s0
	s_clause 0x1
	global_load_b128 v[83:86], v14, s[4:5] offset:560
	global_load_b128 v[78:81], v13, s[4:5] offset:560
	v_lshlrev_b32_e32 v13, 4, v12
	v_and_b32_e32 v11, 0xffff, v11
	s_clause 0x1
	global_load_b128 v[16:19], v[62:63], off offset:560
	global_load_b128 v[22:25], v[36:37], off offset:560
	v_cmp_lt_u32_e64 s0, 8, v64
	global_load_b128 v[94:97], v13, s[4:5] offset:560
	v_lshlrev_b32_e32 v13, 4, v11
	v_lshlrev_b32_e32 v14, 2, v93
	;; [unrolled: 1-line block ×3, first 2 shown]
	v_mul_u32_u24_e32 v20, 0x360, v113
	v_mul_u32_u24_e32 v21, 0x360, v114
	global_load_b128 v[98:101], v13, s[4:5] offset:560
	s_wait_alu 0xf1ff
	v_cndmask_b32_e64 v13, 0, 0x360, s0
	v_mul_u32_u24_e32 v39, 0x360, v115
	v_lshlrev_b32_e32 v3, 2, v3
	v_lshlrev_b32_e32 v2, 2, v2
	;; [unrolled: 1-line block ×3, first 2 shown]
	v_add3_u32 v15, 0, v13, v14
	v_and_b32_e32 v13, 0xffff, v112
	v_and_b32_e32 v14, 0xffff, v92
	v_lshlrev_b32_e32 v12, 2, v12
	ds_load_2addr_b32 v[59:60], v71 offset0:112 offset1:175
	v_lshl_add_u32 v38, v11, 2, 0
	v_mul_u32_u24_e32 v13, 0x360, v13
	v_mul_u32_u24_e32 v14, 0x360, v14
	v_add3_u32 v46, 0, v20, v2
	v_add3_u32 v47, 0, v21, v4
	;; [unrolled: 1-line block ×4, first 2 shown]
	ds_load_2addr_b32 v[36:37], v77 offset0:120 offset1:183
	v_add3_u32 v45, 0, v14, v3
	ds_load_2addr_b32 v[11:12], v67 offset1:63
	ds_load_2addr_b32 v[92:93], v74 offset0:118 offset1:181
	ds_load_2addr_b32 v[112:113], v72 offset0:110 offset1:173
	;; [unrolled: 1-line block ×9, first 2 shown]
	v_add_nc_u32_e32 v44, 0x1400, v38
	global_wb scope:SCOPE_SE
	s_wait_loadcnt_dscnt 0x0
	s_barrier_signal -1
	s_barrier_wait -1
	global_inv scope:SCOPE_SE
	v_cmp_gt_u32_e64 s0, 27, v64
	v_mul_f32_e32 v55, v92, v27
	v_mul_f32_e32 v58, v112, v29
	;; [unrolled: 1-line block ×4, first 2 shown]
	s_delay_alu instid0(VALU_DEP_4) | instskip(NEXT) | instid1(VALU_DEP_4)
	v_fmac_f32_e32 v55, v90, v26
	v_fmac_f32_e32 v58, v102, v28
	s_delay_alu instid0(VALU_DEP_4) | instskip(NEXT) | instid1(VALU_DEP_4)
	v_fmac_f32_e32 v54, v91, v40
	v_dual_fmac_f32 v57, v103, v42 :: v_dual_mul_f32 v50, v114, v84
	v_dual_mul_f32 v56, v115, v79 :: v_dual_mul_f32 v75, v36, v17
	v_mul_f32_e32 v4, v30, v17
	v_mul_f32_e32 v76, v59, v19
	;; [unrolled: 1-line block ×6, first 2 shown]
	v_dual_mul_f32 v23, v52, v25 :: v_dual_fmac_f32 v76, v51, v18
	v_fma_f32 v77, v59, v18, -v17
	v_mul_f32_e32 v51, v116, v86
	v_mul_f32_e32 v59, v117, v81
	;; [unrolled: 1-line block ×4, first 2 shown]
	v_fmac_f32_e32 v75, v30, v16
	v_fma_f32 v82, v36, v16, -v4
	v_mul_f32_e32 v4, v104, v84
	v_dual_mul_f32 v16, v106, v86 :: v_dual_fmac_f32 v63, v52, v24
	v_fma_f32 v88, v60, v24, -v23
	v_mul_f32_e32 v52, v119, v99
	v_dual_mul_f32 v60, v121, v101 :: v_dual_fmac_f32 v61, v31, v22
	v_fma_f32 v86, v37, v22, -v19
	v_dual_mul_f32 v18, v107, v81 :: v_dual_mul_f32 v19, v108, v95
	v_mul_f32_e32 v25, v90, v27
	v_mul_f32_e32 v27, v102, v29
	;; [unrolled: 1-line block ×4, first 2 shown]
	v_dual_mul_f32 v17, v105, v79 :: v_dual_mul_f32 v22, v110, v97
	v_mul_f32_e32 v24, v111, v101
	v_dual_fmac_f32 v50, v104, v83 :: v_dual_fmac_f32 v51, v106, v85
	v_dual_fmac_f32 v56, v105, v78 :: v_dual_fmac_f32 v59, v107, v80
	v_fmac_f32_e32 v49, v108, v94
	v_fmac_f32_e32 v53, v110, v96
	v_mul_f32_e32 v23, v109, v99
	v_fma_f32 v87, v114, v83, -v4
	v_fma_f32 v83, v116, v85, -v16
	v_fmac_f32_e32 v52, v109, v98
	v_fmac_f32_e32 v60, v111, v100
	v_add_f32_e32 v16, v75, v76
	v_fma_f32 v85, v117, v80, -v18
	v_fma_f32 v80, v118, v94, -v19
	v_add_f32_e32 v19, v61, v63
	v_fma_f32 v92, v92, v26, -v25
	v_fma_f32 v90, v112, v28, -v27
	;; [unrolled: 1-line block ×7, first 2 shown]
	v_dual_add_f32 v24, v55, v58 :: v_dual_add_f32 v27, v54, v57
	v_add_f32_e32 v30, v50, v51
	v_dual_add_f32 v37, v56, v59 :: v_dual_add_f32 v42, v49, v53
	v_fma_f32 v81, v119, v98, -v23
	v_dual_add_f32 v4, v9, v75 :: v_dual_sub_f32 v17, v82, v77
	v_dual_add_f32 v18, v10, v61 :: v_dual_add_f32 v23, v7, v55
	v_add_f32_e32 v29, v5, v50
	v_add_f32_e32 v93, v52, v60
	v_fma_f32 v9, -0.5, v16, v9
	v_sub_f32_e32 v22, v86, v88
	v_dual_fmac_f32 v10, -0.5, v19 :: v_dual_sub_f32 v25, v92, v90
	v_add_f32_e32 v26, v8, v54
	v_sub_f32_e32 v28, v91, v89
	v_dual_sub_f32 v31, v87, v83 :: v_dual_add_f32 v36, v6, v56
	v_sub_f32_e32 v40, v84, v85
	v_add_f32_e32 v41, v0, v49
	v_sub_f32_e32 v43, v80, v78
	v_fma_f32 v7, -0.5, v24, v7
	v_fmac_f32_e32 v8, -0.5, v27
	v_fma_f32 v24, -0.5, v30, v5
	v_fmac_f32_e32 v6, -0.5, v37
	v_fma_f32 v0, -0.5, v42, v0
	v_add_f32_e32 v62, v1, v52
	v_dual_sub_f32 v94, v81, v79 :: v_dual_add_f32 v95, v4, v76
	v_add_f32_e32 v16, v18, v63
	v_dual_add_f32 v18, v23, v58 :: v_dual_add_f32 v23, v29, v51
	v_fmac_f32_e32 v1, -0.5, v93
	v_fmamk_f32 v29, v17, 0xbf5db3d7, v9
	v_fmac_f32_e32 v9, 0x3f5db3d7, v17
	v_fmamk_f32 v17, v22, 0xbf5db3d7, v10
	v_dual_fmac_f32 v10, 0x3f5db3d7, v22 :: v_dual_add_f32 v19, v26, v57
	v_dual_add_f32 v26, v36, v59 :: v_dual_add_f32 v27, v41, v53
	v_fmamk_f32 v22, v25, 0xbf5db3d7, v7
	v_fmac_f32_e32 v7, 0x3f5db3d7, v25
	v_fmamk_f32 v25, v28, 0xbf5db3d7, v8
	v_fmac_f32_e32 v8, 0x3f5db3d7, v28
	;; [unrolled: 2-line block ×3, first 2 shown]
	v_fmamk_f32 v30, v40, 0xbf5db3d7, v6
	v_fmamk_f32 v31, v43, 0xbf5db3d7, v0
	v_fmac_f32_e32 v0, 0x3f5db3d7, v43
	v_add_f32_e32 v4, v62, v60
	v_fmac_f32_e32 v6, 0x3f5db3d7, v40
	v_fmamk_f32 v5, v94, 0xbf5db3d7, v1
	v_fmac_f32_e32 v1, 0x3f5db3d7, v94
	ds_store_2addr_b32 v67, v95, v29 offset1:72
	ds_store_b32 v67, v9 offset:576
	ds_store_2addr_b32 v15, v16, v17 offset1:72
	ds_store_b32 v15, v10 offset:576
	;; [unrolled: 2-line block ×7, first 2 shown]
	ds_store_2addr_b32 v44, v4, v5 offset0:16 offset1:88
	ds_store_b32 v38, v1 offset:5760
	global_wb scope:SCOPE_SE
	s_wait_dscnt 0x0
	s_barrier_signal -1
	s_barrier_wait -1
	global_inv scope:SCOPE_SE
	ds_load_2addr_b32 v[16:17], v67 offset1:63
	ds_load_2addr_b32 v[18:19], v67 offset0:126 offset1:216
	ds_load_2addr_b32 v[22:23], v70 offset0:176 offset1:239
	ds_load_2addr_b32 v[40:41], v74 offset0:46 offset1:136
	ds_load_2addr_b32 v[24:25], v69 offset0:96 offset1:159
	ds_load_2addr_b32 v[42:43], v71 offset0:94 offset1:184
	ds_load_2addr_b32 v[30:31], v73 offset0:16 offset1:79
	ds_load_2addr_b32 v[36:37], v70 offset0:23 offset1:86
	ds_load_2addr_b32 v[28:29], v68 offset0:71 offset1:134
	ds_load_2addr_b32 v[26:27], v72 offset0:119 offset1:182
	ds_load_b32 v62, v67 offset:5688
                                        ; implicit-def: $vgpr6
                                        ; implicit-def: $vgpr0
                                        ; implicit-def: $vgpr9
	s_and_saveexec_b32 s1, s0
	s_cbranch_execz .LBB0_15
; %bb.14:
	v_add_nc_u32_e32 v0, 0x980, v67
	v_add_nc_u32_e32 v1, 0x280, v67
	ds_load_2addr_b32 v[8:9], v0 offset0:13 offset1:229
	ds_load_2addr_b32 v[4:5], v1 offset0:29 offset1:245
	ds_load_2addr_b32 v[6:7], v72 offset0:29 offset1:245
	ds_load_b32 v0, v67 offset:5940
	s_wait_dscnt 0x3
	v_mov_b32_e32 v1, v8
.LBB0_15:
	s_wait_alu 0xfffe
	s_or_b32 exec_lo, exec_lo, s1
	v_dual_add_f32 v8, v82, v77 :: v_dual_sub_f32 v75, v75, v76
	v_dual_add_f32 v10, v11, v82 :: v_dual_sub_f32 v61, v61, v63
	v_add_f32_e32 v76, v86, v88
	s_delay_alu instid0(VALU_DEP_3) | instskip(SKIP_1) | instid1(VALU_DEP_4)
	v_fma_f32 v8, -0.5, v8, v11
	v_add_f32_e32 v11, v12, v86
	v_add_f32_e32 v63, v10, v77
	global_wb scope:SCOPE_SE
	s_wait_dscnt 0x0
	v_fmac_f32_e32 v12, -0.5, v76
	v_fmamk_f32 v76, v75, 0x3f5db3d7, v8
	v_dual_fmac_f32 v8, 0xbf5db3d7, v75 :: v_dual_add_f32 v75, v11, v88
	s_delay_alu instid0(VALU_DEP_3) | instskip(SKIP_2) | instid1(VALU_DEP_2)
	v_dual_add_f32 v10, v92, v90 :: v_dual_fmamk_f32 v77, v61, 0x3f5db3d7, v12
	v_dual_add_f32 v11, v13, v92 :: v_dual_fmac_f32 v12, 0xbf5db3d7, v61
	s_barrier_signal -1
	v_fma_f32 v13, -0.5, v10, v13
	v_sub_f32_e32 v10, v55, v58
	s_delay_alu instid0(VALU_DEP_3)
	v_add_f32_e32 v55, v11, v90
	v_add_f32_e32 v11, v14, v91
	v_sub_f32_e32 v54, v54, v57
	v_add_f32_e32 v61, v91, v89
	v_fmamk_f32 v57, v10, 0x3f5db3d7, v13
	v_dual_fmac_f32 v13, 0xbf5db3d7, v10 :: v_dual_add_f32 v10, v87, v83
	s_barrier_wait -1
	s_delay_alu instid0(VALU_DEP_3) | instskip(SKIP_1) | instid1(VALU_DEP_3)
	v_fmac_f32_e32 v14, -0.5, v61
	v_dual_add_f32 v58, v11, v89 :: v_dual_add_f32 v11, v20, v87
	v_fma_f32 v20, -0.5, v10, v20
	v_sub_f32_e32 v10, v50, v51
	s_delay_alu instid0(VALU_DEP_4)
	v_fmamk_f32 v61, v54, 0x3f5db3d7, v14
	v_dual_fmac_f32 v14, 0xbf5db3d7, v54 :: v_dual_sub_f32 v51, v56, v59
	v_add_f32_e32 v54, v84, v85
	v_dual_add_f32 v50, v11, v83 :: v_dual_add_f32 v11, v21, v84
	v_sub_f32_e32 v52, v52, v60
	global_inv scope:SCOPE_SE
	v_dual_fmac_f32 v21, -0.5, v54 :: v_dual_fmamk_f32 v54, v10, 0x3f5db3d7, v20
	v_fmac_f32_e32 v20, 0xbf5db3d7, v10
	v_add_f32_e32 v10, v80, v78
	v_dual_add_f32 v56, v11, v85 :: v_dual_add_f32 v11, v81, v79
	s_delay_alu instid0(VALU_DEP_4)
	v_fmamk_f32 v59, v51, 0x3f5db3d7, v21
	v_fmac_f32_e32 v21, 0xbf5db3d7, v51
	v_add_f32_e32 v51, v2, v80
	v_fma_f32 v2, -0.5, v10, v2
	v_sub_f32_e32 v10, v49, v53
	v_add_f32_e32 v49, v3, v81
	v_fmac_f32_e32 v3, -0.5, v11
	v_add_f32_e32 v51, v51, v78
	s_delay_alu instid0(VALU_DEP_4) | instskip(SKIP_1) | instid1(VALU_DEP_4)
	v_fmamk_f32 v53, v10, 0x3f5db3d7, v2
	v_fmac_f32_e32 v2, 0xbf5db3d7, v10
	v_dual_add_f32 v10, v49, v79 :: v_dual_fmamk_f32 v11, v52, 0x3f5db3d7, v3
	v_fmac_f32_e32 v3, 0xbf5db3d7, v52
	ds_store_2addr_b32 v67, v63, v76 offset1:72
	ds_store_b32 v67, v8 offset:576
	ds_store_2addr_b32 v15, v75, v77 offset1:72
	ds_store_b32 v15, v12 offset:576
	;; [unrolled: 2-line block ×7, first 2 shown]
	ds_store_2addr_b32 v44, v10, v11 offset0:16 offset1:88
	ds_store_b32 v38, v3 offset:5760
	global_wb scope:SCOPE_SE
	s_wait_dscnt 0x0
	s_barrier_signal -1
	s_barrier_wait -1
	global_inv scope:SCOPE_SE
	ds_load_2addr_b32 v[38:39], v67 offset1:63
	ds_load_2addr_b32 v[44:45], v67 offset0:126 offset1:216
	ds_load_2addr_b32 v[46:47], v70 offset0:176 offset1:239
	;; [unrolled: 1-line block ×9, first 2 shown]
	ds_load_b32 v63, v67 offset:5688
                                        ; implicit-def: $vgpr12
                                        ; implicit-def: $vgpr2
                                        ; implicit-def: $vgpr15
	s_and_saveexec_b32 s1, s0
	s_cbranch_execz .LBB0_17
; %bb.16:
	v_add_nc_u32_e32 v2, 0x980, v67
	v_add_nc_u32_e32 v3, 0x280, v67
	;; [unrolled: 1-line block ×3, first 2 shown]
	ds_load_2addr_b32 v[14:15], v2 offset0:13 offset1:229
	ds_load_2addr_b32 v[10:11], v3 offset0:29 offset1:245
	;; [unrolled: 1-line block ×3, first 2 shown]
	ds_load_b32 v2, v67 offset:5940
	s_wait_dscnt 0x3
	v_mov_b32_e32 v3, v14
.LBB0_17:
	s_wait_alu 0xfffe
	s_or_b32 exec_lo, exec_lo, s1
	s_and_saveexec_b32 s1, vcc_lo
	s_cbranch_execz .LBB0_20
; %bb.18:
	v_mul_u32_u24_e32 v8, 6, v66
	v_mul_u32_u24_e32 v14, 6, v64
	v_mad_u32_u24 v20, v66, 6, 0xfffffe86
	v_mul_lo_u32 v66, s3, v34
	v_mul_lo_u32 v103, s2, v35
	v_dual_mov_b32 v21, 0 :: v_dual_lshlrev_b32 v8, 3, v8
	v_mad_co_u64_u32 v[34:35], null, s2, v34, 0
	v_lshlrev_b64_e32 v[32:33], 3, v[32:33]
	s_clause 0x2
	global_load_b128 v[67:70], v8, s[4:5] offset:1712
	global_load_b128 v[71:74], v8, s[4:5] offset:1744
	;; [unrolled: 1-line block ×3, first 2 shown]
	v_lshlrev_b32_e32 v8, 3, v14
	v_lshlrev_b64_e32 v[91:92], 3, v[20:21]
	v_lshrrev_b32_e32 v20, 3, v64
	v_add3_u32 v35, v35, v103, v66
	s_delay_alu instid0(VALU_DEP_3) | instskip(SKIP_1) | instid1(VALU_DEP_4)
	v_add_co_u32 v99, vcc_lo, s4, v91
	s_wait_alu 0xfffd
	v_add_co_ci_u32_e32 v100, vcc_lo, s5, v92, vcc_lo
	v_mul_hi_u32 v20, 0x97b425f, v20
	v_lshlrev_b64_e32 v[34:35], 3, v[34:35]
	s_delay_alu instid0(VALU_DEP_2) | instskip(NEXT) | instid1(VALU_DEP_1)
	v_mul_lo_u32 v20, 0xd8, v20
	v_sub_nc_u32_e32 v20, v64, v20
	s_wait_loadcnt_dscnt 0x100
	v_mul_f32_e32 v107, v63, v74
	s_wait_loadcnt 0x0
	v_mul_f32_e32 v109, v55, v76
	s_clause 0x5
	global_load_b128 v[79:82], v8, s[4:5] offset:1712
	global_load_b128 v[83:86], v8, s[4:5] offset:1744
	;; [unrolled: 1-line block ×3, first 2 shown]
	global_load_b128 v[91:94], v[99:100], off offset:1712
	global_load_b128 v[95:98], v[99:100], off offset:1744
	;; [unrolled: 1-line block ×3, first 2 shown]
	v_add_nc_u32_e32 v8, 63, v64
	v_add_nc_u32_e32 v66, 0x7e, v64
	v_dual_mul_f32 v108, v60, v78 :: v_dual_fmac_f32 v109, v29, v75
	v_mul_f32_e32 v76, v29, v76
	s_delay_alu instid0(VALU_DEP_4) | instskip(SKIP_1) | instid1(VALU_DEP_4)
	v_lshrrev_b32_e32 v14, 3, v8
	v_mul_f32_e32 v78, v42, v78
	v_fmac_f32_e32 v108, v42, v77
	v_fmac_f32_e32 v107, v62, v73
	v_mul_f32_e32 v111, v51, v72
	v_mul_hi_u32 v14, 0x97b425f, v14
	v_mul_f32_e32 v106, v53, v68
	v_mul_f32_e32 v72, v27, v72
	s_delay_alu instid0(VALU_DEP_4) | instskip(NEXT) | instid1(VALU_DEP_3)
	v_fmac_f32_e32 v111, v27, v71
	v_fmac_f32_e32 v106, v37, v67
	v_mul_lo_u32 v104, 0xd8, v14
	s_delay_alu instid0(VALU_DEP_1) | instskip(NEXT) | instid1(VALU_DEP_1)
	v_sub_nc_u32_e32 v8, v8, v104
	v_mad_co_u64_u32 v[103:104], null, 0x5e8, v14, v[8:9]
	v_add_co_u32 v8, vcc_lo, s10, v34
	s_wait_alu 0xfffd
	v_add_co_ci_u32_e32 v14, vcc_lo, s11, v35, vcc_lo
	v_lshlrev_b32_e32 v34, 3, v20
	s_delay_alu instid0(VALU_DEP_3)
	v_add_co_u32 v8, vcc_lo, v8, v32
	v_mov_b32_e32 v104, v21
	v_add_nc_u32_e32 v20, 0xd8, v103
	s_wait_alu 0xfffd
	v_add_co_ci_u32_e32 v14, vcc_lo, v14, v33, vcc_lo
	v_add_co_u32 v32, vcc_lo, v8, v34
	v_lshlrev_b64_e32 v[34:35], 3, v[103:104]
	s_wait_alu 0xfffd
	s_delay_alu instid0(VALU_DEP_3) | instskip(NEXT) | instid1(VALU_DEP_2)
	v_add_co_ci_u32_e32 v33, vcc_lo, 0, v14, vcc_lo
	v_add_co_u32 v34, vcc_lo, v8, v34
	s_wait_alu 0xfffd
	s_delay_alu instid0(VALU_DEP_3)
	v_add_co_ci_u32_e32 v35, vcc_lo, v14, v35, vcc_lo
	s_wait_loadcnt 0x4
	v_dual_mul_f32 v112, v45, v80 :: v_dual_mul_f32 v113, v56, v86
	v_mul_f32_e32 v68, v37, v68
	s_wait_loadcnt 0x3
	v_mul_f32_e32 v115, v59, v88
	v_lshlrev_b64_e32 v[104:105], 3, v[20:21]
	v_dual_mul_f32 v117, v61, v84 :: v_dual_add_nc_u32 v20, 0x1b0, v103
	s_delay_alu instid0(VALU_DEP_3)
	v_dual_mul_f32 v110, v58, v70 :: v_dual_fmac_f32 v115, v41, v87
	v_mul_f32_e32 v74, v62, v74
	v_mul_f32_e32 v70, v40, v70
	v_mul_f32_e32 v114, v48, v90
	v_mul_f32_e32 v116, v46, v82
	v_mul_f32_e32 v88, v41, v88
	v_fmac_f32_e32 v110, v40, v69
	v_dual_mul_f32 v80, v19, v80 :: v_dual_fmac_f32 v113, v30, v85
	v_fma_f32 v29, v53, v67, -v68
	v_fmac_f32_e32 v117, v43, v83
	v_fma_f32 v27, v63, v73, -v74
	v_mul_f32_e32 v84, v43, v84
	v_mul_f32_e32 v90, v24, v90
	v_fma_f32 v37, v55, v75, -v76
	v_add_f32_e32 v75, v110, v111
	v_mul_f32_e32 v82, v22, v82
	v_fma_f32 v41, v61, v83, -v84
	s_wait_loadcnt 0x0
	v_mul_f32_e32 v53, v54, v100
	v_mul_f32_e32 v61, v25, v102
	v_fma_f32 v42, v51, v71, -v72
	v_fma_f32 v51, v58, v69, -v70
	v_dual_sub_f32 v67, v106, v107 :: v_dual_fmac_f32 v114, v24, v89
	v_sub_f32_e32 v69, v110, v111
	v_add_f32_e32 v73, v106, v107
	v_fma_f32 v24, v59, v87, -v88
	v_dual_mul_f32 v59, v36, v92 :: v_dual_fmac_f32 v116, v22, v81
	v_fmac_f32_e32 v53, v28, v99
	v_fma_f32 v22, v45, v79, -v80
	v_mul_f32_e32 v45, v52, v92
	v_fma_f32 v40, v60, v77, -v78
	v_mul_f32_e32 v86, v30, v86
	v_add_f32_e32 v72, v51, v42
	v_fma_f32 v30, v48, v89, -v90
	s_delay_alu instid0(VALU_DEP_4)
	v_dual_mul_f32 v48, v49, v102 :: v_dual_add_f32 v71, v40, v37
	v_mul_f32_e32 v55, v47, v94
	v_mul_f32_e32 v63, v23, v94
	v_fmac_f32_e32 v112, v19, v79
	v_fma_f32 v19, v56, v85, -v86
	v_add_f32_e32 v70, v29, v27
	v_dual_mul_f32 v60, v28, v100 :: v_dual_sub_f32 v27, v29, v27
	v_sub_f32_e32 v29, v40, v37
	v_fma_f32 v43, v46, v81, -v82
	v_sub_f32_e32 v37, v51, v42
	v_dual_sub_f32 v51, v116, v117 :: v_dual_mul_f32 v46, v57, v98
	v_add_f32_e32 v79, v112, v113
	v_fmac_f32_e32 v45, v36, v91
	v_sub_f32_e32 v68, v108, v109
	v_fma_f32 v28, v49, v101, -v61
	v_sub_f32_e32 v49, v71, v72
	v_mul_f32_e32 v58, v31, v98
	v_dual_mul_f32 v56, v50, v96 :: v_dual_fmac_f32 v55, v23, v93
	v_mul_f32_e32 v62, v26, v96
	v_add_f32_e32 v74, v108, v109
	v_add_f32_e32 v76, v22, v19
	v_dual_add_f32 v77, v30, v24 :: v_dual_add_f32 v78, v43, v41
	v_add_f32_e32 v81, v116, v117
	v_sub_f32_e32 v19, v22, v19
	v_sub_f32_e32 v42, v114, v115
	;; [unrolled: 1-line block ×3, first 2 shown]
	v_fmac_f32_e32 v46, v31, v97
	v_sub_f32_e32 v24, v43, v41
	v_fmac_f32_e32 v48, v25, v101
	v_fma_f32 v25, v52, v91, -v59
	v_sub_f32_e32 v41, v68, v69
	v_fma_f32 v23, v57, v97, -v58
	v_sub_f32_e32 v58, v27, v29
	v_sub_f32_e32 v59, v29, v37
	v_dual_add_f32 v29, v29, v37 :: v_dual_add_f32 v80, v114, v115
	v_sub_f32_e32 v40, v112, v113
	v_fma_f32 v31, v47, v93, -v63
	v_add_f32_e32 v43, v68, v69
	v_fma_f32 v30, v50, v95, -v62
	v_dual_add_f32 v57, v73, v75 :: v_dual_sub_f32 v62, v75, v73
	v_sub_f32_e32 v37, v37, v27
	v_dual_sub_f32 v52, v73, v74 :: v_dual_sub_f32 v73, v79, v80
	v_dual_fmac_f32 v56, v26, v95 :: v_dual_sub_f32 v63, v40, v42
	v_sub_f32_e32 v47, v70, v71
	v_fma_f32 v26, v54, v99, -v60
	v_sub_f32_e32 v54, v74, v75
	v_add_f32_e32 v86, v25, v23
	v_sub_f32_e32 v25, v25, v23
	s_delay_alu instid0(VALU_DEP_4)
	v_dual_sub_f32 v60, v69, v67 :: v_dual_add_f32 v87, v28, v26
	v_dual_add_f32 v50, v70, v72 :: v_dual_sub_f32 v23, v28, v26
	v_sub_f32_e32 v61, v72, v70
	v_dual_sub_f32 v69, v76, v77 :: v_dual_sub_f32 v70, v77, v78
	v_dual_add_f32 v72, v76, v78 :: v_dual_add_f32 v27, v27, v29
	v_sub_f32_e32 v75, v80, v81
	v_sub_f32_e32 v83, v19, v22
	;; [unrolled: 1-line block ×5, first 2 shown]
	v_mul_f32_e32 v28, 0x3f08b237, v41
	v_mul_f32_e32 v41, 0x3d64c772, v49
	v_dual_add_f32 v82, v79, v81 :: v_dual_mul_f32 v29, 0xbf5ff5aa, v60
	v_dual_sub_f32 v79, v45, v46 :: v_dual_sub_f32 v84, v22, v24
	v_dual_add_f32 v22, v22, v24 :: v_dual_sub_f32 v81, v48, v53
	v_dual_add_f32 v45, v45, v46 :: v_dual_sub_f32 v68, v42, v51
	;; [unrolled: 1-line block ×3, first 2 shown]
	v_sub_f32_e32 v85, v55, v56
	v_dual_mul_f32 v49, 0x3f4a47b2, v52 :: v_dual_add_f32 v88, v31, v30
	v_add_f32_e32 v46, v48, v53
	v_dual_add_f32 v48, v55, v56 :: v_dual_sub_f32 v93, v25, v23
	v_sub_f32_e32 v26, v31, v30
	v_add_f32_e32 v30, v67, v43
	v_dual_add_f32 v43, v71, v50 :: v_dual_sub_f32 v24, v24, v19
	v_dual_mul_f32 v50, 0x3d64c772, v54 :: v_dual_add_f32 v53, v74, v57
	v_mul_f32_e32 v54, 0x3f08b237, v59
	v_add_f32_e32 v40, v40, v42
	v_mul_f32_e32 v42, 0x3f4a47b2, v69
	v_mul_f32_e32 v57, 0x3d64c772, v70
	v_dual_add_f32 v59, v77, v72 :: v_dual_add_f32 v72, v19, v22
	v_add_f32_e32 v19, v44, v43
	v_mul_f32_e32 v31, 0x3f4a47b2, v47
	v_mul_f32_e32 v55, 0xbf5ff5aa, v37
	;; [unrolled: 1-line block ×4, first 2 shown]
	v_dual_add_f32 v70, v80, v82 :: v_dual_mul_f32 v71, 0x3f08b237, v84
	v_dual_mul_f32 v74, 0xbf5ff5aa, v51 :: v_dual_mul_f32 v75, 0xbf5ff5aa, v24
	v_sub_f32_e32 v77, v79, v81
	v_sub_f32_e32 v80, v81, v85
	v_add_f32_e32 v81, v81, v85
	v_add_f32_e32 v89, v86, v88
	v_dual_sub_f32 v91, v46, v48 :: v_dual_sub_f32 v90, v45, v46
	v_sub_f32_e32 v82, v86, v87
	v_sub_f32_e32 v84, v87, v88
	v_dual_add_f32 v92, v45, v48 :: v_dual_fmamk_f32 v43, v43, 0xbf955555, v19
	v_add_f32_e32 v95, v23, v26
	v_sub_f32_e32 v45, v48, v45
	v_fmamk_f32 v47, v47, 0x3f4a47b2, v41
	v_fmamk_f32 v48, v36, 0xbeae86e6, v28
	v_add_f32_e32 v18, v18, v53
	v_sub_f32_e32 v86, v88, v86
	v_fma_f32 v88, 0x3eae86e6, v36, -v29
	v_fma_f32 v36, 0x3f3bfb3b, v61, -v41
	;; [unrolled: 1-line block ×3, first 2 shown]
	v_dual_sub_f32 v94, v23, v26 :: v_dual_sub_f32 v85, v85, v79
	v_fma_f32 v29, 0xbf3bfb3b, v61, -v31
	v_fmamk_f32 v44, v52, 0x3f4a47b2, v50
	v_fma_f32 v31, 0xbf3bfb3b, v62, -v49
	v_fma_f32 v49, 0x3eae86e6, v58, -v55
	;; [unrolled: 1-line block ×3, first 2 shown]
	v_dual_fmamk_f32 v50, v63, 0xbeae86e6, v56 :: v_dual_add_f32 v23, v38, v59
	v_dual_add_f32 v46, v46, v92 :: v_dual_fmac_f32 v41, 0xbee1c552, v30
	v_fmamk_f32 v53, v53, 0xbf955555, v18
	v_fmamk_f32 v52, v58, 0xbeae86e6, v54
	v_fma_f32 v58, 0x3eae86e6, v63, -v74
	v_add_f32_e32 v63, v79, v81
	v_fma_f32 v54, 0xbf5ff5aa, v37, -v54
	v_fmamk_f32 v37, v69, 0x3f4a47b2, v57
	v_add_f32_e32 v69, v87, v89
	v_mul_f32_e32 v67, 0x3f4a47b2, v73
	v_dual_sub_f32 v26, v26, v25 :: v_dual_fmac_f32 v49, 0xbee1c552, v27
	v_dual_add_f32 v22, v16, v70 :: v_dual_fmamk_f32 v55, v83, 0xbeae86e6, v71
	v_fma_f32 v60, 0x3eae86e6, v83, -v75
	v_fma_f32 v57, 0x3f3bfb3b, v76, -v57
	;; [unrolled: 1-line block ×4, first 2 shown]
	v_dual_add_f32 v75, v25, v95 :: v_dual_fmac_f32 v50, 0xbee1c552, v40
	v_dual_fmac_f32 v58, 0xbee1c552, v40 :: v_dual_add_f32 v25, v39, v69
	v_dual_add_f32 v24, v17, v46 :: v_dual_add_f32 v17, v47, v43
	v_add_f32_e32 v39, v29, v43
	v_add_f32_e32 v36, v36, v43
	v_dual_fmac_f32 v54, 0xbee1c552, v27 :: v_dual_add_f32 v43, v28, v53
	v_dual_fmac_f32 v52, 0xbee1c552, v27 :: v_dual_fmac_f32 v51, 0xbee1c552, v40
	v_fmamk_f32 v27, v59, 0xbf955555, v23
	v_mul_f32_e32 v62, 0x3f08b237, v80
	v_fma_f32 v16, 0xbf3bfb3b, v76, -v42
	v_fma_f32 v42, 0xbf3bfb3b, v78, -v67
	;; [unrolled: 1-line block ×3, first 2 shown]
	v_add_f32_e32 v47, v57, v27
	v_fmamk_f32 v59, v77, 0xbeae86e6, v62
	v_mul_f32_e32 v78, 0xbf5ff5aa, v26
	v_dual_fmac_f32 v48, 0xbee1c552, v30 :: v_dual_fmac_f32 v55, 0xbee1c552, v72
	v_mul_f32_e32 v74, 0x3f08b237, v94
	s_delay_alu instid0(VALU_DEP_4)
	v_dual_fmac_f32 v88, 0xbee1c552, v30 :: v_dual_fmac_f32 v59, 0xbee1c552, v63
	v_mul_f32_e32 v76, 0xbf5ff5aa, v85
	v_fmamk_f32 v30, v70, 0xbf955555, v22
	v_fmamk_f32 v38, v73, 0x3f4a47b2, v68
	v_mul_f32_e32 v73, 0x3d64c772, v91
	v_mul_f32_e32 v71, 0x3f4a47b2, v90
	;; [unrolled: 1-line block ×3, first 2 shown]
	v_dual_mul_f32 v68, 0x3d64c772, v84 :: v_dual_add_f32 v57, v61, v30
	v_add_f32_e32 v40, v44, v53
	s_delay_alu instid0(VALU_DEP_4)
	v_fma_f32 v71, 0xbf3bfb3b, v45, -v71
	v_add_f32_e32 v80, v16, v27
	v_dual_add_f32 v44, v31, v53 :: v_dual_add_f32 v53, v37, v27
	v_fmamk_f32 v61, v69, 0xbf955555, v25
	v_add_f32_e32 v81, v42, v30
	v_add_f32_e32 v27, v48, v17
	v_fmamk_f32 v79, v93, 0xbeae86e6, v74
	v_add_f32_e32 v29, v88, v39
	v_fma_f32 v76, 0x3eae86e6, v77, -v76
	v_sub_f32_e32 v31, v36, v41
	v_fma_f32 v77, 0x3eae86e6, v93, -v78
	v_add_f32_e32 v78, v38, v30
	v_fma_f32 v67, 0xbf3bfb3b, v86, -v67
	v_fmac_f32_e32 v56, 0xbee1c552, v72
	v_fma_f32 v62, 0xbf5ff5aa, v85, -v62
	v_dual_fmac_f32 v79, 0xbee1c552, v75 :: v_dual_fmac_f32 v60, 0xbee1c552, v72
	v_fmamk_f32 v72, v90, 0x3f4a47b2, v73
	v_fma_f32 v73, 0x3f3bfb3b, v45, -v73
	v_dual_fmac_f32 v77, 0xbee1c552, v75 :: v_dual_sub_f32 v28, v44, v49
	v_sub_f32_e32 v45, v47, v51
	v_add_f32_e32 v47, v51, v47
	v_sub_f32_e32 v51, v53, v50
	v_dual_add_f32 v37, v41, v36 :: v_dual_add_f32 v30, v54, v43
	v_dual_sub_f32 v36, v43, v54 :: v_dual_add_f32 v43, v58, v80
	v_fmamk_f32 v69, v46, 0xbf955555, v24
	v_dual_fmamk_f32 v70, v82, 0x3f4a47b2, v68 :: v_dual_sub_f32 v39, v39, v88
	v_fma_f32 v68, 0x3f3bfb3b, v86, -v68
	v_dual_sub_f32 v41, v17, v48 :: v_dual_fmac_f32 v76, 0xbee1c552, v63
	v_add_f32_e32 v54, v67, v61
	v_add_f32_e32 v17, v50, v53
	v_dual_add_f32 v53, v72, v69 :: v_dual_add_f32 v50, v55, v78
	v_fmac_f32_e32 v62, 0xbee1c552, v63
	v_add_f32_e32 v38, v49, v44
	v_sub_f32_e32 v16, v78, v55
	v_add_f32_e32 v48, v60, v81
	v_add_f32_e32 v55, v71, v69
	v_dual_sub_f32 v49, v80, v58 :: v_dual_sub_f32 v46, v57, v56
	v_add_f32_e32 v44, v56, v57
	v_fma_f32 v74, 0xbf5ff5aa, v26, -v74
	v_sub_f32_e32 v26, v40, v52
	v_add_f32_e32 v40, v52, v40
	v_add_f32_e32 v52, v70, v61
	v_sub_f32_e32 v42, v81, v60
	v_add_f32_e32 v56, v68, v61
	s_clause 0x6
	global_store_b64 v[32:33], v[22:23], off
	global_store_b64 v[32:33], v[50:51], off offset:1728
	global_store_b64 v[32:33], v[48:49], off offset:3456
	;; [unrolled: 1-line block ×6, first 2 shown]
	v_add_f32_e32 v23, v76, v54
	v_sub_f32_e32 v47, v52, v59
	v_sub_f32_e32 v45, v54, v76
	v_lshrrev_b32_e32 v54, 3, v66
	v_add_f32_e32 v57, v73, v69
	v_sub_f32_e32 v33, v56, v62
	v_add_f32_e32 v43, v62, v56
	v_lshlrev_b64_e32 v[48:49], 3, v[20:21]
	v_mul_hi_u32 v56, 0x97b425f, v54
	v_add_nc_u32_e32 v20, 0x288, v103
	v_dual_fmac_f32 v74, 0xbee1c552, v75 :: v_dual_add_f32 v17, v59, v52
	v_sub_f32_e32 v16, v53, v79
	v_add_f32_e32 v46, v79, v53
	v_add_co_u32 v50, vcc_lo, v8, v104
	v_lshlrev_b64_e32 v[52:53], 3, v[20:21]
	v_add_f32_e32 v32, v74, v57
	v_sub_f32_e32 v42, v57, v74
	s_wait_alu 0xfffd
	v_add_co_ci_u32_e32 v51, vcc_lo, v14, v105, vcc_lo
	v_add_nc_u32_e32 v20, 0x360, v103
	v_mul_lo_u32 v57, 0xd8, v56
	v_add_co_u32 v48, vcc_lo, v8, v48
	s_wait_alu 0xfffd
	v_add_co_ci_u32_e32 v49, vcc_lo, v14, v49, vcc_lo
	v_add_co_u32 v52, vcc_lo, v8, v52
	v_sub_f32_e32 v22, v55, v77
	v_add_f32_e32 v44, v77, v55
	v_lshlrev_b64_e32 v[54:55], 3, v[20:21]
	v_add_nc_u32_e32 v20, 0x438, v103
	s_wait_alu 0xfffd
	v_add_co_ci_u32_e32 v53, vcc_lo, v14, v53, vcc_lo
	s_clause 0x3
	global_store_b64 v[34:35], v[24:25], off
	global_store_b64 v[50:51], v[46:47], off
	global_store_b64 v[48:49], v[44:45], off
	global_store_b64 v[52:53], v[42:43], off
	v_sub_nc_u32_e32 v34, v66, v57
	v_lshlrev_b64_e32 v[24:25], 3, v[20:21]
	v_add_nc_u32_e32 v20, 0x510, v103
	v_add_co_u32 v42, vcc_lo, v8, v54
	s_delay_alu instid0(VALU_DEP_4) | instskip(NEXT) | instid1(VALU_DEP_3)
	v_mad_co_u64_u32 v[34:35], null, 0x5e8, v56, v[34:35]
	v_lshlrev_b64_e32 v[44:45], 3, v[20:21]
	s_wait_alu 0xfffd
	v_add_co_ci_u32_e32 v43, vcc_lo, v14, v55, vcc_lo
	v_add_co_u32 v24, vcc_lo, v8, v24
	s_wait_alu 0xfffd
	v_add_co_ci_u32_e32 v25, vcc_lo, v14, v25, vcc_lo
	v_mov_b32_e32 v35, v21
	v_add_co_u32 v44, vcc_lo, v8, v44
	v_add_nc_u32_e32 v20, 0xd8, v34
	s_wait_alu 0xfffd
	v_add_co_ci_u32_e32 v45, vcc_lo, v14, v45, vcc_lo
	v_lshlrev_b64_e32 v[46:47], 3, v[34:35]
	s_clause 0x2
	global_store_b64 v[42:43], v[32:33], off
	global_store_b64 v[24:25], v[22:23], off
	;; [unrolled: 1-line block ×3, first 2 shown]
	v_lshlrev_b64_e32 v[16:17], 3, v[20:21]
	v_add_nc_u32_e32 v20, 0x1b0, v34
	v_add_co_u32 v22, vcc_lo, v8, v46
	s_delay_alu instid0(VALU_DEP_2)
	v_lshlrev_b64_e32 v[24:25], 3, v[20:21]
	v_add_nc_u32_e32 v20, 0x288, v34
	s_wait_alu 0xfffd
	v_add_co_ci_u32_e32 v23, vcc_lo, v14, v47, vcc_lo
	v_add_co_u32 v32, vcc_lo, v8, v16
	s_wait_alu 0xfffd
	v_add_co_ci_u32_e32 v33, vcc_lo, v14, v17, vcc_lo
	v_lshlrev_b64_e32 v[16:17], 3, v[20:21]
	v_add_nc_u32_e32 v20, 0x360, v34
	v_add_co_u32 v24, vcc_lo, v8, v24
	s_wait_alu 0xfffd
	v_add_co_ci_u32_e32 v25, vcc_lo, v14, v25, vcc_lo
	s_delay_alu instid0(VALU_DEP_3) | instskip(SKIP_4) | instid1(VALU_DEP_3)
	v_lshlrev_b64_e32 v[42:43], 3, v[20:21]
	v_add_nc_u32_e32 v20, 0x438, v34
	v_add_co_u32 v44, vcc_lo, v8, v16
	s_wait_alu 0xfffd
	v_add_co_ci_u32_e32 v45, vcc_lo, v14, v17, vcc_lo
	v_lshlrev_b64_e32 v[16:17], 3, v[20:21]
	v_add_nc_u32_e32 v20, 0x510, v34
	v_add_co_u32 v34, vcc_lo, v8, v42
	s_wait_alu 0xfffd
	v_add_co_ci_u32_e32 v35, vcc_lo, v14, v43, vcc_lo
	s_delay_alu instid0(VALU_DEP_3) | instskip(SKIP_4) | instid1(VALU_DEP_4)
	v_lshlrev_b64_e32 v[42:43], 3, v[20:21]
	v_add_co_u32 v46, vcc_lo, v8, v16
	v_add_nc_u32_e32 v16, 0xbd, v64
	s_wait_alu 0xfffd
	v_add_co_ci_u32_e32 v47, vcc_lo, v14, v17, vcc_lo
	v_add_co_u32 v42, vcc_lo, v8, v42
	s_wait_alu 0xfffd
	v_add_co_ci_u32_e32 v43, vcc_lo, v14, v43, vcc_lo
	v_cmp_gt_u32_e32 vcc_lo, 0xd8, v16
	s_clause 0x6
	global_store_b64 v[22:23], v[18:19], off
	global_store_b64 v[32:33], v[40:41], off
	;; [unrolled: 1-line block ×7, first 2 shown]
	s_and_b32 exec_lo, exec_lo, vcc_lo
	s_cbranch_execz .LBB0_20
; %bb.19:
	v_subrev_nc_u32_e32 v17, 27, v64
	s_delay_alu instid0(VALU_DEP_1) | instskip(NEXT) | instid1(VALU_DEP_1)
	v_cndmask_b32_e64 v17, v17, v65, s0
	v_mul_i32_i24_e32 v20, 6, v17
	s_delay_alu instid0(VALU_DEP_1) | instskip(SKIP_1) | instid1(VALU_DEP_2)
	v_lshlrev_b64_e32 v[17:18], 3, v[20:21]
	v_add_nc_u32_e32 v20, 0x195, v64
	v_add_co_u32 v17, vcc_lo, s4, v17
	s_wait_alu 0xfffd
	s_delay_alu instid0(VALU_DEP_3)
	v_add_co_ci_u32_e32 v18, vcc_lo, s5, v18, vcc_lo
	s_clause 0x2
	global_load_b128 v[22:25], v[17:18], off offset:1712
	global_load_b128 v[26:29], v[17:18], off offset:1728
	;; [unrolled: 1-line block ×3, first 2 shown]
	v_mov_b32_e32 v17, v21
	v_lshlrev_b64_e32 v[18:19], 3, v[20:21]
	v_add_nc_u32_e32 v20, 0x26d, v64
	s_delay_alu instid0(VALU_DEP_3) | instskip(NEXT) | instid1(VALU_DEP_2)
	v_lshlrev_b64_e32 v[16:17], 3, v[16:17]
	v_lshlrev_b64_e32 v[34:35], 3, v[20:21]
	v_add_nc_u32_e32 v20, 0x345, v64
	s_delay_alu instid0(VALU_DEP_3) | instskip(SKIP_1) | instid1(VALU_DEP_4)
	v_add_co_u32 v16, vcc_lo, v8, v16
	s_wait_alu 0xfffd
	v_add_co_ci_u32_e32 v17, vcc_lo, v14, v17, vcc_lo
	s_delay_alu instid0(VALU_DEP_3)
	v_lshlrev_b64_e32 v[36:37], 3, v[20:21]
	v_add_nc_u32_e32 v20, 0x41d, v64
	v_add_co_u32 v18, vcc_lo, v8, v18
	s_wait_alu 0xfffd
	v_add_co_ci_u32_e32 v19, vcc_lo, v14, v19, vcc_lo
	v_add_co_u32 v34, vcc_lo, v8, v34
	s_wait_alu 0xfffd
	v_add_co_ci_u32_e32 v35, vcc_lo, v14, v35, vcc_lo
	;; [unrolled: 3-line block ×3, first 2 shown]
	s_wait_loadcnt 0x1
	v_mul_f32_e32 v42, v15, v27
	v_mul_f32_e32 v27, v9, v27
	v_lshlrev_b64_e32 v[38:39], 3, v[20:21]
	v_dual_mul_f32 v43, v12, v29 :: v_dual_add_nc_u32 v20, 0x4f5, v64
	s_wait_loadcnt 0x0
	v_dual_mul_f32 v29, v6, v29 :: v_dual_mul_f32 v44, v13, v31
	v_mul_f32_e32 v45, v2, v33
	s_delay_alu instid0(VALU_DEP_3)
	v_lshlrev_b64_e32 v[40:41], 3, v[20:21]
	v_fmac_f32_e32 v43, v6, v28
	v_add_nc_u32_e32 v20, 0x5cd, v64
	v_add_co_u32 v38, vcc_lo, v8, v38
	s_wait_alu 0xfffd
	v_add_co_ci_u32_e32 v39, vcc_lo, v14, v39, vcc_lo
	s_delay_alu instid0(VALU_DEP_3) | instskip(SKIP_4) | instid1(VALU_DEP_4)
	v_lshlrev_b64_e32 v[20:21], 3, v[20:21]
	v_add_co_u32 v40, vcc_lo, v8, v40
	s_wait_alu 0xfffd
	v_add_co_ci_u32_e32 v41, vcc_lo, v14, v41, vcc_lo
	v_mul_f32_e32 v33, v0, v33
	v_add_co_u32 v20, vcc_lo, v8, v20
	s_wait_alu 0xfffd
	v_add_co_ci_u32_e32 v21, vcc_lo, v14, v21, vcc_lo
	v_mul_f32_e32 v8, v11, v23
	v_dual_mul_f32 v14, v5, v23 :: v_dual_mul_f32 v23, v3, v25
	v_mul_f32_e32 v25, v1, v25
	s_delay_alu instid0(VALU_DEP_3) | instskip(NEXT) | instid1(VALU_DEP_3)
	v_dual_mul_f32 v31, v7, v31 :: v_dual_fmac_f32 v8, v5, v22
	v_fma_f32 v5, v11, v22, -v14
	s_delay_alu instid0(VALU_DEP_4) | instskip(NEXT) | instid1(VALU_DEP_4)
	v_fmac_f32_e32 v23, v1, v24
	v_fma_f32 v1, v3, v24, -v25
	v_dual_fmac_f32 v42, v9, v26 :: v_dual_fmac_f32 v45, v0, v32
	v_fma_f32 v0, v2, v32, -v33
	v_fmac_f32_e32 v44, v7, v30
	v_fma_f32 v6, v13, v30, -v31
	v_fma_f32 v3, v15, v26, -v27
	v_add_f32_e32 v7, v8, v45
	v_fma_f32 v2, v12, v28, -v29
	v_dual_add_f32 v9, v5, v0 :: v_dual_sub_f32 v8, v8, v45
	v_sub_f32_e32 v0, v5, v0
	v_add_f32_e32 v5, v23, v44
	v_dual_add_f32 v11, v1, v6 :: v_dual_sub_f32 v12, v23, v44
	v_dual_sub_f32 v1, v1, v6 :: v_dual_add_f32 v6, v42, v43
	v_dual_add_f32 v13, v3, v2 :: v_dual_sub_f32 v2, v2, v3
	s_delay_alu instid0(VALU_DEP_4) | instskip(NEXT) | instid1(VALU_DEP_4)
	v_dual_sub_f32 v14, v43, v42 :: v_dual_add_f32 v3, v5, v7
	v_dual_add_f32 v15, v11, v9 :: v_dual_sub_f32 v22, v5, v7
	s_delay_alu instid0(VALU_DEP_4) | instskip(NEXT) | instid1(VALU_DEP_3)
	v_sub_f32_e32 v5, v6, v5
	v_dual_sub_f32 v23, v11, v9 :: v_dual_add_f32 v24, v14, v12
	v_dual_sub_f32 v7, v7, v6 :: v_dual_sub_f32 v26, v14, v12
	v_dual_sub_f32 v9, v9, v13 :: v_dual_sub_f32 v14, v8, v14
	v_dual_add_f32 v25, v2, v1 :: v_dual_sub_f32 v28, v1, v0
	v_dual_sub_f32 v27, v2, v1 :: v_dual_sub_f32 v2, v0, v2
	v_add_f32_e32 v3, v6, v3
	v_dual_add_f32 v6, v13, v15 :: v_dual_mul_f32 v15, 0x3d64c772, v5
	v_dual_sub_f32 v11, v13, v11 :: v_dual_sub_f32 v12, v12, v8
	v_add_f32_e32 v8, v24, v8
	v_add_f32_e32 v13, v25, v0
	v_dual_mul_f32 v9, 0x3f4a47b2, v9 :: v_dual_add_f32 v0, v4, v3
	v_dual_mul_f32 v25, 0x3f08b237, v26 :: v_dual_mul_f32 v26, 0x3f08b237, v27
	v_add_f32_e32 v1, v10, v6
	v_fma_f32 v10, 0x3f3bfb3b, v22, -v15
	v_mul_f32_e32 v7, 0x3f4a47b2, v7
	v_mul_f32_e32 v24, 0x3d64c772, v11
	s_delay_alu instid0(VALU_DEP_2) | instskip(SKIP_2) | instid1(VALU_DEP_1)
	v_fmamk_f32 v4, v5, 0x3d64c772, v7
	v_fma_f32 v7, 0xbf3bfb3b, v22, -v7
	v_fmamk_f32 v22, v2, 0xbeae86e6, v26
	v_fmac_f32_e32 v22, 0xbee1c552, v13
	v_fmamk_f32 v5, v11, 0x3d64c772, v9
	v_fma_f32 v9, 0xbf3bfb3b, v23, -v9
	v_mul_f32_e32 v29, 0xbf5ff5aa, v28
	v_fma_f32 v11, 0x3f3bfb3b, v23, -v24
	v_fma_f32 v23, 0xbf5ff5aa, v28, -v26
	s_delay_alu instid0(VALU_DEP_3)
	v_fma_f32 v24, 0x3eae86e6, v2, -v29
	v_fmamk_f32 v2, v3, 0xbf955555, v0
	v_mul_f32_e32 v27, 0xbf5ff5aa, v12
	v_fma_f32 v12, 0xbf5ff5aa, v12, -v25
	v_fmac_f32_e32 v23, 0xbee1c552, v13
	v_fmac_f32_e32 v24, 0xbee1c552, v13
	v_fmamk_f32 v15, v14, 0xbeae86e6, v25
	v_fma_f32 v14, 0x3eae86e6, v14, -v27
	v_dual_fmac_f32 v12, 0xbee1c552, v8 :: v_dual_add_f32 v13, v4, v2
	s_delay_alu instid0(VALU_DEP_3) | instskip(NEXT) | instid1(VALU_DEP_3)
	v_fmac_f32_e32 v15, 0xbee1c552, v8
	v_fmac_f32_e32 v14, 0xbee1c552, v8
	v_add_f32_e32 v8, v10, v2
	v_dual_fmamk_f32 v3, v6, 0xbf955555, v1 :: v_dual_add_f32 v10, v7, v2
	v_add_f32_e32 v2, v22, v13
	s_delay_alu instid0(VALU_DEP_3) | instskip(NEXT) | instid1(VALU_DEP_3)
	v_sub_f32_e32 v6, v8, v23
	v_add_f32_e32 v25, v5, v3
	v_add_f32_e32 v26, v9, v3
	;; [unrolled: 1-line block ×3, first 2 shown]
	s_delay_alu instid0(VALU_DEP_2) | instskip(NEXT) | instid1(VALU_DEP_2)
	v_dual_add_f32 v8, v23, v8 :: v_dual_sub_f32 v5, v26, v14
	v_add_f32_e32 v7, v12, v9
	v_sub_f32_e32 v9, v9, v12
	v_sub_f32_e32 v12, v13, v22
	v_dual_sub_f32 v3, v25, v15 :: v_dual_add_f32 v4, v24, v10
	v_sub_f32_e32 v10, v10, v24
	v_add_f32_e32 v11, v14, v26
	v_add_f32_e32 v13, v15, v25
	s_clause 0x6
	global_store_b64 v[16:17], v[0:1], off
	global_store_b64 v[18:19], v[2:3], off
	;; [unrolled: 1-line block ×7, first 2 shown]
.LBB0_20:
	s_nop 0
	s_sendmsg sendmsg(MSG_DEALLOC_VGPRS)
	s_endpgm
	.section	.rodata,"a",@progbits
	.p2align	6, 0x0
	.amdhsa_kernel fft_rtc_back_len1512_factors_2_2_2_3_3_3_7_wgs_63_tpt_63_halfLds_sp_op_CI_CI_unitstride_sbrr_dirReg
		.amdhsa_group_segment_fixed_size 0
		.amdhsa_private_segment_fixed_size 0
		.amdhsa_kernarg_size 104
		.amdhsa_user_sgpr_count 2
		.amdhsa_user_sgpr_dispatch_ptr 0
		.amdhsa_user_sgpr_queue_ptr 0
		.amdhsa_user_sgpr_kernarg_segment_ptr 1
		.amdhsa_user_sgpr_dispatch_id 0
		.amdhsa_user_sgpr_private_segment_size 0
		.amdhsa_wavefront_size32 1
		.amdhsa_uses_dynamic_stack 0
		.amdhsa_enable_private_segment 0
		.amdhsa_system_sgpr_workgroup_id_x 1
		.amdhsa_system_sgpr_workgroup_id_y 0
		.amdhsa_system_sgpr_workgroup_id_z 0
		.amdhsa_system_sgpr_workgroup_info 0
		.amdhsa_system_vgpr_workitem_id 0
		.amdhsa_next_free_vgpr 125
		.amdhsa_next_free_sgpr 39
		.amdhsa_reserve_vcc 1
		.amdhsa_float_round_mode_32 0
		.amdhsa_float_round_mode_16_64 0
		.amdhsa_float_denorm_mode_32 3
		.amdhsa_float_denorm_mode_16_64 3
		.amdhsa_fp16_overflow 0
		.amdhsa_workgroup_processor_mode 1
		.amdhsa_memory_ordered 1
		.amdhsa_forward_progress 0
		.amdhsa_round_robin_scheduling 0
		.amdhsa_exception_fp_ieee_invalid_op 0
		.amdhsa_exception_fp_denorm_src 0
		.amdhsa_exception_fp_ieee_div_zero 0
		.amdhsa_exception_fp_ieee_overflow 0
		.amdhsa_exception_fp_ieee_underflow 0
		.amdhsa_exception_fp_ieee_inexact 0
		.amdhsa_exception_int_div_zero 0
	.end_amdhsa_kernel
	.text
.Lfunc_end0:
	.size	fft_rtc_back_len1512_factors_2_2_2_3_3_3_7_wgs_63_tpt_63_halfLds_sp_op_CI_CI_unitstride_sbrr_dirReg, .Lfunc_end0-fft_rtc_back_len1512_factors_2_2_2_3_3_3_7_wgs_63_tpt_63_halfLds_sp_op_CI_CI_unitstride_sbrr_dirReg
                                        ; -- End function
	.section	.AMDGPU.csdata,"",@progbits
; Kernel info:
; codeLenInByte = 16612
; NumSgprs: 41
; NumVgprs: 125
; ScratchSize: 0
; MemoryBound: 0
; FloatMode: 240
; IeeeMode: 1
; LDSByteSize: 0 bytes/workgroup (compile time only)
; SGPRBlocks: 5
; VGPRBlocks: 15
; NumSGPRsForWavesPerEU: 41
; NumVGPRsForWavesPerEU: 125
; Occupancy: 10
; WaveLimiterHint : 1
; COMPUTE_PGM_RSRC2:SCRATCH_EN: 0
; COMPUTE_PGM_RSRC2:USER_SGPR: 2
; COMPUTE_PGM_RSRC2:TRAP_HANDLER: 0
; COMPUTE_PGM_RSRC2:TGID_X_EN: 1
; COMPUTE_PGM_RSRC2:TGID_Y_EN: 0
; COMPUTE_PGM_RSRC2:TGID_Z_EN: 0
; COMPUTE_PGM_RSRC2:TIDIG_COMP_CNT: 0
	.text
	.p2alignl 7, 3214868480
	.fill 96, 4, 3214868480
	.type	__hip_cuid_9be33b8fee990f59,@object ; @__hip_cuid_9be33b8fee990f59
	.section	.bss,"aw",@nobits
	.globl	__hip_cuid_9be33b8fee990f59
__hip_cuid_9be33b8fee990f59:
	.byte	0                               ; 0x0
	.size	__hip_cuid_9be33b8fee990f59, 1

	.ident	"AMD clang version 19.0.0git (https://github.com/RadeonOpenCompute/llvm-project roc-6.4.0 25133 c7fe45cf4b819c5991fe208aaa96edf142730f1d)"
	.section	".note.GNU-stack","",@progbits
	.addrsig
	.addrsig_sym __hip_cuid_9be33b8fee990f59
	.amdgpu_metadata
---
amdhsa.kernels:
  - .args:
      - .actual_access:  read_only
        .address_space:  global
        .offset:         0
        .size:           8
        .value_kind:     global_buffer
      - .offset:         8
        .size:           8
        .value_kind:     by_value
      - .actual_access:  read_only
        .address_space:  global
        .offset:         16
        .size:           8
        .value_kind:     global_buffer
      - .actual_access:  read_only
        .address_space:  global
        .offset:         24
        .size:           8
        .value_kind:     global_buffer
      - .actual_access:  read_only
        .address_space:  global
        .offset:         32
        .size:           8
        .value_kind:     global_buffer
      - .offset:         40
        .size:           8
        .value_kind:     by_value
      - .actual_access:  read_only
        .address_space:  global
        .offset:         48
        .size:           8
        .value_kind:     global_buffer
      - .actual_access:  read_only
        .address_space:  global
        .offset:         56
        .size:           8
        .value_kind:     global_buffer
      - .offset:         64
        .size:           4
        .value_kind:     by_value
      - .actual_access:  read_only
        .address_space:  global
        .offset:         72
        .size:           8
        .value_kind:     global_buffer
      - .actual_access:  read_only
        .address_space:  global
        .offset:         80
        .size:           8
        .value_kind:     global_buffer
      - .actual_access:  read_only
        .address_space:  global
        .offset:         88
        .size:           8
        .value_kind:     global_buffer
      - .actual_access:  write_only
        .address_space:  global
        .offset:         96
        .size:           8
        .value_kind:     global_buffer
    .group_segment_fixed_size: 0
    .kernarg_segment_align: 8
    .kernarg_segment_size: 104
    .language:       OpenCL C
    .language_version:
      - 2
      - 0
    .max_flat_workgroup_size: 63
    .name:           fft_rtc_back_len1512_factors_2_2_2_3_3_3_7_wgs_63_tpt_63_halfLds_sp_op_CI_CI_unitstride_sbrr_dirReg
    .private_segment_fixed_size: 0
    .sgpr_count:     41
    .sgpr_spill_count: 0
    .symbol:         fft_rtc_back_len1512_factors_2_2_2_3_3_3_7_wgs_63_tpt_63_halfLds_sp_op_CI_CI_unitstride_sbrr_dirReg.kd
    .uniform_work_group_size: 1
    .uses_dynamic_stack: false
    .vgpr_count:     125
    .vgpr_spill_count: 0
    .wavefront_size: 32
    .workgroup_processor_mode: 1
amdhsa.target:   amdgcn-amd-amdhsa--gfx1201
amdhsa.version:
  - 1
  - 2
...

	.end_amdgpu_metadata
